;; amdgpu-corpus repo=ROCm/rocFFT kind=compiled arch=gfx1201 opt=O3
	.text
	.amdgcn_target "amdgcn-amd-amdhsa--gfx1201"
	.amdhsa_code_object_version 6
	.protected	bluestein_single_fwd_len17_dim1_sp_op_CI_CI ; -- Begin function bluestein_single_fwd_len17_dim1_sp_op_CI_CI
	.globl	bluestein_single_fwd_len17_dim1_sp_op_CI_CI
	.p2align	8
	.type	bluestein_single_fwd_len17_dim1_sp_op_CI_CI,@function
bluestein_single_fwd_len17_dim1_sp_op_CI_CI: ; @bluestein_single_fwd_len17_dim1_sp_op_CI_CI
; %bb.0:
	s_load_b128 s[8:11], s[0:1], 0x28
	v_mad_co_u64_u32 v[28:29], null, 0x78, ttmp9, v[0:1]
	v_mov_b32_e32 v29, 0
	s_mov_b32 s2, exec_lo
	s_wait_kmcnt 0x0
	s_delay_alu instid0(VALU_DEP_1)
	v_cmpx_gt_u64_e64 s[8:9], v[28:29]
	s_cbranch_execz .LBB0_2
; %bb.1:
	s_load_b128 s[20:23], s[0:1], 0x18
	s_wait_kmcnt 0x0
	s_load_b128 s[4:7], s[20:21], 0x0
	s_wait_kmcnt 0x0
	v_mad_co_u64_u32 v[0:1], null, s6, v28, 0
	s_lshl_b64 s[2:3], s[4:5], 3
	s_lshl_b64 s[8:9], s[4:5], 5
	;; [unrolled: 1-line block ×3, first 2 shown]
	s_delay_alu instid0(VALU_DEP_1) | instskip(SKIP_1) | instid1(VALU_DEP_1)
	v_mad_co_u64_u32 v[1:2], null, s7, v28, v[1:2]
	s_lshl_b64 s[6:7], s[4:5], 4
	v_lshlrev_b64_e32 v[0:1], 3, v[0:1]
	s_delay_alu instid0(VALU_DEP_1) | instskip(NEXT) | instid1(VALU_DEP_2)
	v_add_co_u32 v0, vcc_lo, s10, v0
	v_add_co_ci_u32_e32 v1, vcc_lo, s11, v1, vcc_lo
	s_lshl_b64 s[10:11], s[4:5], 7
	s_delay_alu instid0(VALU_DEP_2) | instskip(SKIP_1) | instid1(VALU_DEP_2)
	v_add_co_u32 v2, vcc_lo, v0, s2
	s_wait_alu 0xfffd
	v_add_co_ci_u32_e32 v3, vcc_lo, s3, v1, vcc_lo
	s_wait_alu 0xfffe
	v_add_co_u32 v4, vcc_lo, v0, s6
	s_wait_alu 0xfffd
	v_add_co_ci_u32_e32 v5, vcc_lo, s7, v1, vcc_lo
	v_add_co_u32 v8, vcc_lo, v0, s8
	s_wait_alu 0xfffd
	v_add_co_ci_u32_e32 v9, vcc_lo, s9, v1, vcc_lo
	;; [unrolled: 3-line block ×3, first 2 shown]
	s_clause 0x4
	global_load_b64 v[33:34], v[0:1], off
	global_load_b64 v[2:3], v[2:3], off
	;; [unrolled: 1-line block ×5, first 2 shown]
	v_mad_co_u64_u32 v[6:7], null, s4, 24, v[0:1]
	v_mad_co_u64_u32 v[10:11], null, s4, 40, v[0:1]
	;; [unrolled: 1-line block ×11, first 2 shown]
	v_add_co_u32 v0, vcc_lo, v0, s10
	s_wait_alu 0xfffd
	v_add_co_ci_u32_e32 v1, vcc_lo, s11, v1, vcc_lo
	s_clause 0x1
	s_load_b64 s[2:3], s[0:1], 0x0
	s_load_b64 s[0:1], s[0:1], 0x38
	s_wait_loadcnt 0x1
	v_mad_co_u64_u32 v[35:36], null, s5, 24, v[7:8]
	v_mad_co_u64_u32 v[36:37], null, s5, 40, v[11:12]
	;; [unrolled: 1-line block ×3, first 2 shown]
	s_wait_loadcnt 0x0
	v_mad_co_u64_u32 v[38:39], null, s5, 56, v[15:16]
	v_mad_co_u64_u32 v[39:40], null, 0x48, s5, v[19:20]
	;; [unrolled: 1-line block ×8, first 2 shown]
	v_mov_b32_e32 v7, v35
	v_mov_b32_e32 v11, v36
	;; [unrolled: 1-line block ×8, first 2 shown]
	s_clause 0x1
	global_load_b64 v[12:13], v[12:13], off
	global_load_b64 v[14:15], v[14:15], off
	v_mov_b32_e32 v30, v44
	global_load_b64 v[6:7], v[6:7], off
	v_mov_b32_e32 v32, v45
	global_load_b64 v[10:11], v[10:11], off
	v_mov_b32_e32 v27, v43
	s_clause 0x7
	global_load_b64 v[18:19], v[18:19], off
	global_load_b64 v[20:21], v[20:21], off
	global_load_b64 v[22:23], v[22:23], off
	global_load_b64 v[24:25], v[24:25], off
	global_load_b64 v[26:27], v[26:27], off
	global_load_b64 v[29:30], v[29:30], off
	global_load_b64 v[35:36], v[31:32], off
	global_load_b64 v[0:1], v[0:1], off
	s_wait_kmcnt 0x0
	s_clause 0x1
	s_load_b512 s[52:67], s[2:3], 0x0
	s_load_b512 s[4:19], s[2:3], 0x40
	v_mul_hi_u32 v31, 0x88888889, v28
	s_load_b128 s[20:23], s[22:23], 0x0
	s_load_b512 s[36:51], s[2:3], 0x80
	s_delay_alu instid0(VALU_DEP_1) | instskip(NEXT) | instid1(VALU_DEP_1)
	v_lshrrev_b32_e32 v31, 6, v31
	v_mul_lo_u32 v31, 0x78, v31
	s_wait_kmcnt 0x0
	v_dual_mul_f32 v32, s53, v34 :: v_dual_mul_f32 v37, s53, v33
	v_mul_f32_e32 v39, s57, v5
	v_dual_mul_f32 v43, s5, v17 :: v_dual_mul_f32 v40, s57, v4
	s_delay_alu instid0(VALU_DEP_3) | instskip(SKIP_4) | instid1(VALU_DEP_4)
	v_fmac_f32_e32 v32, s52, v33
	v_dual_mul_f32 v41, s61, v9 :: v_dual_mul_f32 v44, s5, v16
	v_mul_f32_e32 v42, s61, v8
	v_sub_nc_u32_e32 v31, v28, v31
	v_fma_f32 v40, v5, s56, -v40
	v_fma_f32 v44, v17, s4, -v44
	s_delay_alu instid0(VALU_DEP_4) | instskip(NEXT) | instid1(VALU_DEP_4)
	v_fma_f32 v42, v9, s60, -v42
	v_mul_u32_u24_e32 v31, 0x88, v31
	s_wait_loadcnt 0x6
	v_mul_f32_e32 v48, s9, v20
	s_wait_loadcnt 0x2
	v_dual_fmac_f32 v43, s4, v16 :: v_dual_mul_f32 v56, s17, v29
	v_dual_mul_f32 v16, s67, v15 :: v_dual_fmac_f32 v39, s56, v4
	v_mul_f32_e32 v50, s11, v22
	v_mul_f32_e32 v4, s63, v11
	v_fma_f32 v33, v34, s52, -v37
	v_dual_mul_f32 v37, s55, v3 :: v_dual_mul_f32 v34, s55, v2
	v_dual_mul_f32 v46, s7, v18 :: v_dual_fmac_f32 v41, s60, v8
	v_mul_f32_e32 v54, s15, v26
	s_delay_alu instid0(VALU_DEP_3)
	v_dual_mul_f32 v8, s65, v13 :: v_dual_fmac_f32 v37, s54, v2
	v_mul_f32_e32 v52, s13, v24
	v_fma_f32 v38, v3, s54, -v34
	v_dual_mul_f32 v2, s59, v7 :: v_dual_mul_f32 v3, s59, v6
	s_wait_loadcnt 0x1
	v_dual_mul_f32 v34, s19, v36 :: v_dual_mul_f32 v5, s63, v10
	v_dual_mul_f32 v58, s19, v35 :: v_dual_mul_f32 v9, s65, v12
	s_delay_alu instid0(VALU_DEP_3)
	v_fmac_f32_e32 v2, s58, v6
	v_dual_mul_f32 v17, s67, v14 :: v_dual_fmac_f32 v8, s64, v12
	v_dual_mul_f32 v45, s7, v19 :: v_dual_fmac_f32 v4, s62, v10
	;; [unrolled: 1-line block ×3, first 2 shown]
	v_mul_f32_e32 v49, s11, v23
	v_dual_mul_f32 v51, s13, v25 :: v_dual_fmac_f32 v34, s18, v35
	v_mul_f32_e32 v53, s15, v27
	v_mul_f32_e32 v55, s17, v30
	s_wait_loadcnt 0x0
	v_mul_f32_e32 v57, s37, v1
	v_mul_f32_e32 v59, s37, v0
	v_fma_f32 v3, v7, s58, -v3
	v_fma_f32 v5, v11, s62, -v5
	;; [unrolled: 1-line block ×4, first 2 shown]
	v_fmac_f32_e32 v45, s6, v18
	v_fma_f32 v46, v19, s6, -v46
	v_fma_f32 v35, v36, s18, -v58
	v_fmac_f32_e32 v47, s8, v20
	v_fma_f32 v48, v21, s8, -v48
	v_fmac_f32_e32 v49, s10, v22
	;; [unrolled: 2-line block ×6, first 2 shown]
	v_fma_f32 v58, v1, s36, -v59
	ds_store_2addr_b64 v31, v[32:33], v[37:38] offset1:1
	ds_store_2addr_b64 v31, v[39:40], v[2:3] offset0:2 offset1:3
	ds_store_2addr_b64 v31, v[41:42], v[4:5] offset0:4 offset1:5
	;; [unrolled: 1-line block ×7, first 2 shown]
	ds_store_b64 v31, v[57:58] offset:128
	global_wb scope:SCOPE_SE
	s_wait_dscnt 0x0
	s_barrier_signal -1
	s_barrier_wait -1
	global_inv scope:SCOPE_SE
	ds_load_2addr_b64 v[24:27], v31 offset1:1
	ds_load_b64 v[29:30], v31 offset:128
	ds_load_2addr_b64 v[32:35], v31 offset0:2 offset1:3
	ds_load_2addr_b64 v[20:23], v31 offset0:14 offset1:15
	ds_load_2addr_b64 v[12:15], v31 offset0:12 offset1:13
	ds_load_2addr_b64 v[16:19], v31 offset0:4 offset1:5
	ds_load_2addr_b64 v[4:7], v31 offset0:6 offset1:7
	ds_load_2addr_b64 v[0:3], v31 offset0:8 offset1:9
	ds_load_2addr_b64 v[8:11], v31 offset0:10 offset1:11
	s_wait_dscnt 0x8
	v_add_f32_e32 v36, v24, v26
	s_wait_dscnt 0x7
	v_add_f32_e32 v38, v29, v26
	v_sub_f32_e32 v26, v26, v29
	s_wait_dscnt 0x5
	v_dual_sub_f32 v46, v34, v20 :: v_dual_add_f32 v37, v25, v27
	v_add_f32_e32 v40, v22, v32
	v_dual_sub_f32 v42, v32, v22 :: v_dual_add_f32 v39, v30, v27
	v_dual_sub_f32 v43, v33, v23 :: v_dual_add_f32 v32, v36, v32
	s_delay_alu instid0(VALU_DEP_4)
	v_mul_f32_e32 v79, 0xbf65296c, v46
	v_mul_f32_e32 v81, 0xbf4c4adb, v46
	;; [unrolled: 1-line block ×8, first 2 shown]
	v_dual_sub_f32 v27, v27, v30 :: v_dual_mul_f32 v64, 0xbf2c7751, v43
	v_add_f32_e32 v41, v23, v33
	v_dual_add_f32 v45, v21, v35 :: v_dual_add_f32 v32, v32, v34
	s_delay_alu instid0(VALU_DEP_3) | instskip(SKIP_2) | instid1(VALU_DEP_3)
	v_dual_sub_f32 v47, v35, v21 :: v_dual_mul_f32 v56, 0xbf7ee86f, v27
	v_dual_add_f32 v33, v37, v33 :: v_dual_mul_f32 v60, 0xbf4c4adb, v27
	v_dual_mul_f32 v36, 0xbeb8f4ab, v27 :: v_dual_mul_f32 v37, 0xbeb8f4ab, v26
	v_mul_f32_e32 v88, 0xbeb8f4ab, v47
	v_mul_f32_e32 v52, 0xbf2c7751, v27
	v_add_f32_e32 v44, v20, v34
	s_wait_dscnt 0x3
	v_dual_add_f32 v48, v14, v16 :: v_dual_add_f32 v49, v15, v17
	v_mul_f32_e32 v58, 0xbf763a35, v27
	v_dual_sub_f32 v50, v16, v14 :: v_dual_sub_f32 v51, v17, v15
	v_dual_mul_f32 v53, 0xbf2c7751, v26 :: v_dual_add_f32 v16, v32, v16
	v_dual_mul_f32 v54, 0xbf65296c, v27 :: v_dual_mul_f32 v55, 0xbf65296c, v26
	v_mul_f32_e32 v78, 0xbf65296c, v47
	v_dual_mul_f32 v57, 0xbf7ee86f, v26 :: v_dual_mul_f32 v66, 0xbf7ee86f, v43
	v_dual_mul_f32 v61, 0xbf4c4adb, v26 :: v_dual_mul_f32 v68, 0xbf4c4adb, v43
	v_dual_mul_f32 v62, 0xbf06c442, v27 :: v_dual_mul_f32 v63, 0xbf06c442, v26
	v_dual_mul_f32 v67, 0xbf7ee86f, v42 :: v_dual_mul_f32 v90, 0xbf7ee86f, v47
	v_dual_mul_f32 v69, 0xbf4c4adb, v42 :: v_dual_mul_f32 v80, 0xbf4c4adb, v47
	v_dual_mul_f32 v70, 0xbe3c28d5, v43 :: v_dual_mul_f32 v71, 0xbe3c28d5, v42
	v_dual_mul_f32 v72, 0x3f06c442, v43 :: v_dual_mul_f32 v73, 0x3f06c442, v42
	v_dual_mul_f32 v74, 0x3f763a35, v43 :: v_dual_mul_f32 v75, 0x3f763a35, v42
	v_dual_mul_f32 v76, 0x3f65296c, v43 :: v_dual_mul_f32 v77, 0x3f65296c, v42
	v_add_f32_e32 v33, v33, v35
	v_fma_f32 v34, 0x3f6eb680, v38, -v36
	v_mul_f32_e32 v27, 0xbe3c28d5, v27
	v_fmac_f32_e32 v36, 0x3f6eb680, v38
	v_mul_f32_e32 v59, 0xbf763a35, v26
	v_mul_f32_e32 v26, 0xbe3c28d5, v26
	v_fma_f32 v98, 0x3f3d2fb0, v38, -v52
	v_fmac_f32_e32 v52, 0x3f3d2fb0, v38
	v_mul_f32_e32 v65, 0xbf2c7751, v42
	v_mul_f32_e32 v42, 0x3eb8f4ab, v42
	v_fmamk_f32 v35, v39, 0x3f6eb680, v37
	v_fma_f32 v37, 0x3f6eb680, v39, -v37
	v_mul_f32_e32 v43, 0x3eb8f4ab, v43
	v_dual_mul_f32 v82, 0x3e3c28d5, v47 :: v_dual_add_f32 v17, v33, v17
	v_dual_mul_f32 v84, 0x3f763a35, v47 :: v_dual_mul_f32 v97, 0x3f763a35, v50
	v_mul_f32_e32 v86, 0x3f2c7751, v47
	v_mul_f32_e32 v92, 0xbf7ee86f, v51
	v_dual_mul_f32 v94, 0xbe3c28d5, v51 :: v_dual_mul_f32 v95, 0xbe3c28d5, v50
	v_fmamk_f32 v99, v39, 0x3f3d2fb0, v53
	v_fma_f32 v53, 0x3f3d2fb0, v39, -v53
	v_fma_f32 v100, 0x3ee437d1, v38, -v54
	v_dual_fmamk_f32 v101, v39, 0x3ee437d1, v55 :: v_dual_fmac_f32 v54, 0x3ee437d1, v38
	v_mul_f32_e32 v47, 0xbf06c442, v47
	v_fma_f32 v55, 0x3ee437d1, v39, -v55
	v_fma_f32 v102, 0x3dbcf732, v38, -v56
	v_dual_fmamk_f32 v103, v39, 0x3dbcf732, v57 :: v_dual_fmac_f32 v56, 0x3dbcf732, v38
	v_fma_f32 v57, 0x3dbcf732, v39, -v57
	v_fma_f32 v104, 0xbe8c1d8e, v38, -v58
	v_fmac_f32_e32 v58, 0xbe8c1d8e, v38
	v_fma_f32 v106, 0xbf1a4643, v38, -v60
	v_dual_fmamk_f32 v107, v39, 0xbf1a4643, v61 :: v_dual_fmac_f32 v60, 0xbf1a4643, v38
	v_fma_f32 v61, 0xbf1a4643, v39, -v61
	v_fma_f32 v108, 0xbf59a7d5, v38, -v62
	v_dual_fmamk_f32 v109, v39, 0xbf59a7d5, v63 :: v_dual_fmac_f32 v62, 0xbf59a7d5, v38
	v_fma_f32 v63, 0xbf59a7d5, v39, -v63
	v_fmamk_f32 v111, v39, 0xbf7ba420, v26
	v_fma_f32 v26, 0xbf7ba420, v39, -v26
	v_fma_f32 v112, 0x3dbcf732, v40, -v66
	;; [unrolled: 1-line block ×3, first 2 shown]
	v_fmac_f32_e32 v88, 0x3f6eb680, v44
	v_dual_fmamk_f32 v139, v45, 0xbf59a7d5, v46 :: v_dual_add_f32 v16, v16, v18
	v_add_f32_e32 v32, v24, v34
	v_fma_f32 v110, 0xbf7ba420, v38, -v27
	v_fmac_f32_e32 v27, 0xbf7ba420, v38
	v_fma_f32 v38, 0x3f3d2fb0, v40, -v64
	v_fmac_f32_e32 v64, 0x3f3d2fb0, v40
	v_dual_add_f32 v34, v24, v36 :: v_dual_fmamk_f32 v105, v39, 0xbe8c1d8e, v59
	v_fma_f32 v59, 0xbe8c1d8e, v39, -v59
	v_dual_add_f32 v36, v24, v98 :: v_dual_add_f32 v33, v25, v35
	v_dual_add_f32 v35, v25, v37 :: v_dual_add_f32 v52, v24, v52
	v_fmamk_f32 v39, v41, 0x3f3d2fb0, v65
	v_fma_f32 v65, 0x3f3d2fb0, v41, -v65
	v_mul_f32_e32 v96, 0x3f763a35, v51
	v_dual_fmamk_f32 v113, v41, 0x3dbcf732, v67 :: v_dual_fmac_f32 v66, 0x3dbcf732, v40
	v_fma_f32 v67, 0x3dbcf732, v41, -v67
	v_fma_f32 v114, 0xbf1a4643, v40, -v68
	v_dual_fmamk_f32 v115, v41, 0xbf1a4643, v69 :: v_dual_fmac_f32 v68, 0xbf1a4643, v40
	v_fma_f32 v69, 0xbf1a4643, v41, -v69
	v_fma_f32 v116, 0xbf7ba420, v40, -v70
	v_dual_fmamk_f32 v117, v41, 0xbf7ba420, v71 :: v_dual_fmac_f32 v70, 0xbf7ba420, v40
	v_mul_f32_e32 v93, 0xbf7ee86f, v50
	v_fma_f32 v71, 0xbf7ba420, v41, -v71
	v_fma_f32 v118, 0xbf59a7d5, v40, -v72
	v_dual_fmamk_f32 v119, v41, 0xbf59a7d5, v73 :: v_dual_fmac_f32 v72, 0xbf59a7d5, v40
	v_fma_f32 v73, 0xbf59a7d5, v41, -v73
	v_fma_f32 v120, 0xbe8c1d8e, v40, -v74
	v_dual_fmamk_f32 v121, v41, 0xbe8c1d8e, v75 :: v_dual_fmac_f32 v74, 0xbe8c1d8e, v40
	v_fma_f32 v75, 0xbe8c1d8e, v41, -v75
	v_fma_f32 v122, 0x3ee437d1, v40, -v76
	v_dual_fmamk_f32 v123, v41, 0x3ee437d1, v77 :: v_dual_fmac_f32 v76, 0x3ee437d1, v40
	v_fma_f32 v77, 0x3ee437d1, v41, -v77
	v_fma_f32 v124, 0x3f6eb680, v40, -v43
	v_dual_fmamk_f32 v125, v41, 0x3f6eb680, v42 :: v_dual_add_f32 v58, v24, v58
	v_fmac_f32_e32 v43, 0x3f6eb680, v40
	v_fma_f32 v40, 0x3f6eb680, v41, -v42
	v_fma_f32 v41, 0x3ee437d1, v44, -v78
	v_dual_fmac_f32 v78, 0x3ee437d1, v44 :: v_dual_add_f32 v37, v25, v99
	v_fma_f32 v126, 0xbf1a4643, v44, -v80
	v_fmac_f32_e32 v80, 0xbf1a4643, v44
	v_fma_f32 v128, 0xbf7ba420, v44, -v82
	v_fmac_f32_e32 v82, 0xbf7ba420, v44
	v_fma_f32 v130, 0xbe8c1d8e, v44, -v84
	v_dual_fmamk_f32 v131, v45, 0xbe8c1d8e, v85 :: v_dual_fmac_f32 v84, 0xbe8c1d8e, v44
	v_fma_f32 v85, 0xbe8c1d8e, v45, -v85
	v_fma_f32 v132, 0x3f3d2fb0, v44, -v86
	v_fmac_f32_e32 v86, 0x3f3d2fb0, v44
	v_fma_f32 v136, 0x3dbcf732, v44, -v90
	v_dual_fmamk_f32 v137, v45, 0x3dbcf732, v91 :: v_dual_fmac_f32 v90, 0x3dbcf732, v44
	v_fma_f32 v91, 0x3dbcf732, v45, -v91
	v_fmamk_f32 v141, v49, 0xbf7ba420, v95
	v_dual_add_f32 v53, v25, v53 :: v_dual_add_f32 v98, v24, v100
	v_fmamk_f32 v42, v45, 0x3ee437d1, v79
	v_fma_f32 v79, 0x3ee437d1, v45, -v79
	v_dual_add_f32 v99, v25, v101 :: v_dual_add_f32 v54, v24, v54
	v_fma_f32 v138, 0xbf59a7d5, v44, -v47
	v_fmac_f32_e32 v47, 0xbf59a7d5, v44
	v_fma_f32 v44, 0xbf59a7d5, v45, -v46
	v_dual_add_f32 v55, v25, v55 :: v_dual_add_f32 v100, v24, v102
	v_dual_add_f32 v101, v25, v103 :: v_dual_add_f32 v56, v24, v56
	v_fmamk_f32 v127, v45, 0xbf1a4643, v81
	v_fma_f32 v81, 0xbf1a4643, v45, -v81
	v_dual_add_f32 v57, v25, v57 :: v_dual_add_f32 v102, v24, v104
	v_fmamk_f32 v129, v45, 0xbf7ba420, v83
	v_fma_f32 v83, 0xbf7ba420, v45, -v83
	v_dual_add_f32 v103, v25, v105 :: v_dual_add_f32 v56, v70, v56
	v_dual_add_f32 v59, v25, v59 :: v_dual_add_f32 v104, v24, v106
	;; [unrolled: 1-line block ×3, first 2 shown]
	v_dual_add_f32 v60, v24, v60 :: v_dual_fmamk_f32 v133, v45, 0x3f3d2fb0, v87
	v_add_f32_e32 v62, v24, v62
	v_fma_f32 v87, 0x3f3d2fb0, v45, -v87
	v_dual_add_f32 v61, v25, v61 :: v_dual_add_f32 v106, v24, v108
	v_dual_fmamk_f32 v135, v45, 0x3f6eb680, v89 :: v_dual_add_f32 v108, v24, v110
	v_fma_f32 v89, 0x3f6eb680, v45, -v89
	v_fma_f32 v45, 0x3dbcf732, v48, -v92
	v_dual_fmac_f32 v92, 0x3dbcf732, v48 :: v_dual_add_f32 v107, v25, v109
	v_dual_add_f32 v60, v74, v60 :: v_dual_add_f32 v63, v25, v63
	v_dual_add_f32 v109, v25, v111 :: v_dual_add_f32 v62, v76, v62
	;; [unrolled: 1-line block ×3, first 2 shown]
	v_add_f32_e32 v70, v124, v108
	v_add_f32_e32 v26, v38, v32
	;; [unrolled: 1-line block ×3, first 2 shown]
	v_dual_add_f32 v34, v112, v36 :: v_dual_add_f32 v27, v39, v33
	s_wait_dscnt 0x2
	v_dual_add_f32 v33, v65, v35 :: v_dual_add_f32 v16, v16, v4
	v_dual_add_f32 v65, v119, v103 :: v_dual_add_f32 v36, v66, v52
	;; [unrolled: 1-line block ×3, first 2 shown]
	v_add_f32_e32 v24, v43, v24
	s_delay_alu instid0(VALU_DEP_4)
	v_dual_add_f32 v16, v16, v6 :: v_dual_add_f32 v61, v75, v61
	v_add_f32_e32 v52, v68, v54
	v_dual_add_f32 v68, v122, v106 :: v_dual_add_f32 v39, v115, v99
	v_add_f32_e32 v26, v41, v26
	s_wait_dscnt 0x1
	v_dual_add_f32 v16, v16, v0 :: v_dual_add_f32 v63, v77, v63
	v_fmamk_f32 v46, v49, 0x3dbcf732, v93
	v_fma_f32 v140, 0xbf7ba420, v48, -v94
	v_fmac_f32_e32 v94, 0xbf7ba420, v48
	s_delay_alu instid0(VALU_DEP_4) | instskip(SKIP_2) | instid1(VALU_DEP_2)
	v_dual_add_f32 v16, v16, v2 :: v_dual_add_f32 v17, v17, v5
	v_dual_add_f32 v35, v113, v37 :: v_dual_add_f32 v32, v78, v32
	s_wait_dscnt 0x0
	v_dual_add_f32 v37, v67, v53 :: v_dual_add_f32 v16, v16, v8
	v_add_f32_e32 v27, v42, v27
	v_dual_add_f32 v17, v17, v7 :: v_dual_add_f32 v62, v90, v62
	v_add_f32_e32 v38, v114, v98
	s_delay_alu instid0(VALU_DEP_4) | instskip(SKIP_1) | instid1(VALU_DEP_2)
	v_dual_add_f32 v16, v16, v10 :: v_dual_add_f32 v53, v69, v55
	v_dual_add_f32 v34, v126, v34 :: v_dual_add_f32 v39, v129, v39
	;; [unrolled: 1-line block ×5, first 2 shown]
	v_add_f32_e32 v69, v123, v107
	v_dual_add_f32 v25, v40, v25 :: v_dual_add_f32 v40, v82, v52
	v_dual_add_f32 v41, v83, v53 :: v_dual_add_f32 v14, v16, v14
	v_add_f32_e32 v52, v84, v56
	v_add_f32_e32 v56, v86, v58
	v_dual_add_f32 v16, v138, v70 :: v_dual_add_f32 v17, v17, v3
	v_dual_add_f32 v54, v116, v100 :: v_dual_add_f32 v43, v131, v55
	v_add_f32_e32 v14, v14, v20
	v_add_f32_e32 v20, v44, v25
	s_delay_alu instid0(VALU_DEP_4)
	v_add_f32_e32 v17, v17, v9
	v_fma_f32 v95, 0xbf7ba420, v49, -v95
	v_dual_add_f32 v57, v71, v57 :: v_dual_add_f32 v38, v128, v38
	v_dual_add_f32 v67, v121, v105 :: v_dual_add_f32 v42, v130, v54
	;; [unrolled: 1-line block ×6, first 2 shown]
	v_fma_f32 v142, 0xbe8c1d8e, v48, -v96
	v_dual_fmac_f32 v96, 0xbe8c1d8e, v48 :: v_dual_add_f32 v53, v85, v57
	s_delay_alu instid0(VALU_DEP_3) | instskip(SKIP_3) | instid1(VALU_DEP_4)
	v_dual_add_f32 v24, v47, v24 :: v_dual_add_f32 v17, v17, v13
	v_add_f32_e32 v57, v87, v59
	v_dual_add_f32 v59, v135, v67 :: v_dual_add_f32 v14, v14, v29
	v_add_f32_e32 v29, v94, v36
	v_dual_add_f32 v15, v17, v15 :: v_dual_mul_f32 v36, 0x3eb8f4ab, v50
	v_fma_f32 v93, 0x3dbcf732, v49, -v93
	v_dual_add_f32 v33, v79, v33 :: v_dual_add_f32 v58, v134, v66
	s_delay_alu instid0(VALU_DEP_3)
	v_add_f32_e32 v15, v15, v21
	v_add_f32_e32 v61, v89, v61
	;; [unrolled: 1-line block ×4, first 2 shown]
	v_mul_f32_e32 v34, 0x3eb8f4ab, v51
	v_add_f32_e32 v15, v15, v23
	v_add_f32_e32 v17, v139, v71
	;; [unrolled: 1-line block ×3, first 2 shown]
	v_dual_add_f32 v33, v142, v38 :: v_dual_add_f32 v38, v96, v40
	v_fmamk_f32 v40, v49, 0x3f6eb680, v36
	v_fma_f32 v36, 0x3f6eb680, v49, -v36
	v_add_f32_e32 v15, v15, v30
	v_add_f32_e32 v30, v95, v37
	v_fma_f32 v37, 0x3f6eb680, v48, -v34
	v_dual_add_f32 v35, v127, v35 :: v_dual_add_f32 v60, v88, v60
	v_dual_add_f32 v63, v91, v63 :: v_dual_fmamk_f32 v32, v49, 0xbe8c1d8e, v97
	v_add_f32_e32 v25, v46, v27
	s_delay_alu instid0(VALU_DEP_4) | instskip(SKIP_1) | instid1(VALU_DEP_4)
	v_add_f32_e32 v37, v37, v42
	v_dual_mul_f32 v42, 0xbf65296c, v50 :: v_dual_add_f32 v65, v137, v69
	v_add_f32_e32 v32, v32, v39
	v_mul_f32_e32 v39, 0xbf65296c, v51
	v_fmac_f32_e32 v34, 0x3f6eb680, v48
	v_add_f32_e32 v40, v40, v43
	v_mul_f32_e32 v43, 0xbf06c442, v51
	v_fmamk_f32 v44, v49, 0x3ee437d1, v42
	v_fma_f32 v42, 0x3ee437d1, v49, -v42
	v_add_f32_e32 v27, v141, v35
	v_fma_f32 v35, 0xbe8c1d8e, v49, -v97
	v_add_f32_e32 v34, v34, v52
	;; [unrolled: 2-line block ×3, first 2 shown]
	s_delay_alu instid0(VALU_DEP_4) | instskip(SKIP_1) | instid1(VALU_DEP_4)
	v_dual_mul_f32 v52, 0x3f4c4adb, v51 :: v_dual_add_f32 v35, v35, v41
	v_fma_f32 v41, 0x3ee437d1, v48, -v39
	v_dual_add_f32 v46, v46, v58 :: v_dual_mul_f32 v51, 0x3f2c7751, v51
	v_add_f32_e32 v36, v36, v53
	s_delay_alu instid0(VALU_DEP_3) | instskip(SKIP_2) | instid1(VALU_DEP_2)
	v_dual_add_f32 v44, v44, v55 :: v_dual_add_f32 v41, v41, v54
	v_fma_f32 v54, 0xbf1a4643, v48, -v52
	v_fmac_f32_e32 v52, 0xbf1a4643, v48
	v_add_f32_e32 v54, v54, v64
	s_delay_alu instid0(VALU_DEP_2) | instskip(SKIP_1) | instid1(VALU_DEP_2)
	v_dual_fmac_f32 v39, 0x3ee437d1, v48 :: v_dual_add_f32 v52, v52, v62
	v_fmac_f32_e32 v43, 0xbf59a7d5, v48
	v_add_f32_e32 v39, v39, v56
	v_fma_f32 v56, 0x3f3d2fb0, v48, -v51
	v_mul_f32_e32 v45, 0xbf06c442, v50
	v_fmac_f32_e32 v51, 0x3f3d2fb0, v48
	v_mul_f32_e32 v53, 0x3f4c4adb, v50
	v_mul_f32_e32 v50, 0x3f2c7751, v50
	s_delay_alu instid0(VALU_DEP_4)
	v_dual_add_f32 v16, v56, v16 :: v_dual_fmamk_f32 v47, v49, 0xbf59a7d5, v45
	v_sub_f32_e32 v48, v18, v12
	v_sub_f32_e32 v56, v19, v13
	v_fma_f32 v45, 0xbf59a7d5, v49, -v45
	v_fmamk_f32 v57, v49, 0x3f3d2fb0, v50
	v_dual_add_f32 v47, v47, v59 :: v_dual_add_f32 v12, v12, v18
	s_delay_alu instid0(VALU_DEP_4)
	v_dual_mul_f32 v18, 0xbf763a35, v56 :: v_dual_add_f32 v13, v13, v19
	v_mul_f32_e32 v19, 0xbf763a35, v48
	v_dual_add_f32 v24, v51, v24 :: v_dual_fmamk_f32 v55, v49, 0xbf1a4643, v53
	v_fma_f32 v53, 0xbf1a4643, v49, -v53
	v_fma_f32 v49, 0x3f3d2fb0, v49, -v50
	;; [unrolled: 1-line block ×3, first 2 shown]
	v_mul_f32_e32 v51, 0x3f06c442, v56
	v_dual_add_f32 v45, v45, v61 :: v_dual_fmac_f32 v18, 0xbe8c1d8e, v12
	s_delay_alu instid0(VALU_DEP_4) | instskip(SKIP_4) | instid1(VALU_DEP_4)
	v_add_f32_e32 v20, v49, v20
	v_fmamk_f32 v49, v13, 0xbe8c1d8e, v19
	v_add_f32_e32 v53, v53, v63
	v_add_f32_e32 v21, v50, v21
	v_fma_f32 v19, 0xbe8c1d8e, v13, -v19
	v_dual_mul_f32 v50, 0x3f06c442, v48 :: v_dual_add_f32 v25, v49, v25
	v_fma_f32 v49, 0xbf59a7d5, v12, -v51
	v_dual_add_f32 v43, v43, v60 :: v_dual_add_f32 v18, v18, v22
	s_delay_alu instid0(VALU_DEP_4) | instskip(NEXT) | instid1(VALU_DEP_3)
	v_dual_add_f32 v19, v19, v23 :: v_dual_mul_f32 v22, 0x3f2c7751, v56
	v_add_f32_e32 v23, v49, v26
	v_dual_fmamk_f32 v26, v13, 0xbf59a7d5, v50 :: v_dual_fmac_f32 v51, 0xbf59a7d5, v12
	v_fma_f32 v49, 0xbf59a7d5, v13, -v50
	s_delay_alu instid0(VALU_DEP_4) | instskip(SKIP_1) | instid1(VALU_DEP_4)
	v_fma_f32 v50, 0x3f3d2fb0, v12, -v22
	v_fmac_f32_e32 v22, 0x3f3d2fb0, v12
	v_dual_add_f32 v26, v26, v27 :: v_dual_add_f32 v55, v55, v65
	v_add_f32_e32 v27, v51, v29
	s_delay_alu instid0(VALU_DEP_4) | instskip(SKIP_4) | instid1(VALU_DEP_3)
	v_dual_add_f32 v29, v49, v30 :: v_dual_add_f32 v30, v50, v33
	v_add_f32_e32 v17, v57, v17
	v_mul_f32_e32 v57, 0x3f2c7751, v48
	v_mul_f32_e32 v49, 0xbf65296c, v56
	v_dual_mul_f32 v51, 0xbf65296c, v48 :: v_dual_add_f32 v22, v22, v38
	v_fmamk_f32 v33, v13, 0x3f3d2fb0, v57
	v_fma_f32 v50, 0x3f3d2fb0, v13, -v57
	s_delay_alu instid0(VALU_DEP_3) | instskip(SKIP_1) | instid1(VALU_DEP_4)
	v_fmamk_f32 v38, v13, 0x3ee437d1, v51
	v_mul_f32_e32 v57, 0x3f7ee86f, v48
	v_add_f32_e32 v32, v33, v32
	v_fma_f32 v33, 0x3ee437d1, v12, -v49
	s_delay_alu instid0(VALU_DEP_1) | instskip(SKIP_3) | instid1(VALU_DEP_3)
	v_dual_add_f32 v38, v38, v40 :: v_dual_add_f32 v33, v33, v37
	v_fma_f32 v37, 0x3ee437d1, v13, -v51
	v_dual_add_f32 v35, v50, v35 :: v_dual_mul_f32 v50, 0xbe3c28d5, v56
	v_mul_f32_e32 v51, 0xbe3c28d5, v48
	v_add_f32_e32 v36, v37, v36
	v_mul_f32_e32 v37, 0x3f7ee86f, v56
	s_delay_alu instid0(VALU_DEP_4) | instskip(SKIP_1) | instid1(VALU_DEP_2)
	v_fma_f32 v40, 0xbf7ba420, v12, -v50
	v_fmac_f32_e32 v50, 0xbf7ba420, v12
	v_dual_fmac_f32 v49, 0x3ee437d1, v12 :: v_dual_add_f32 v40, v40, v41
	v_fmamk_f32 v41, v13, 0xbf7ba420, v51
	s_delay_alu instid0(VALU_DEP_2)
	v_add_f32_e32 v34, v49, v34
	v_fma_f32 v49, 0xbf7ba420, v13, -v51
	v_fma_f32 v51, 0x3dbcf732, v12, -v37
	v_add_f32_e32 v39, v50, v39
	v_add_f32_e32 v41, v41, v44
	v_mul_f32_e32 v50, 0xbeb8f4ab, v48
	v_add_f32_e32 v42, v49, v42
	v_add_f32_e32 v44, v51, v46
	v_fmamk_f32 v46, v13, 0x3dbcf732, v57
	v_mul_f32_e32 v49, 0xbeb8f4ab, v56
	v_fma_f32 v51, 0x3dbcf732, v13, -v57
	v_mul_f32_e32 v48, 0xbf4c4adb, v48
	s_delay_alu instid0(VALU_DEP_4) | instskip(NEXT) | instid1(VALU_DEP_4)
	v_dual_fmac_f32 v37, 0x3dbcf732, v12 :: v_dual_add_f32 v46, v46, v47
	v_fma_f32 v47, 0x3f6eb680, v12, -v49
	s_delay_alu instid0(VALU_DEP_4) | instskip(SKIP_3) | instid1(VALU_DEP_2)
	v_add_f32_e32 v45, v51, v45
	v_mul_f32_e32 v51, 0xbf4c4adb, v56
	v_fmac_f32_e32 v49, 0x3f6eb680, v12
	v_add_f32_e32 v37, v37, v43
	v_add_f32_e32 v49, v49, v52
	v_dual_sub_f32 v52, v5, v11 :: v_dual_add_f32 v5, v11, v5
	v_add_f32_e32 v47, v47, v54
	v_fma_f32 v54, 0xbf1a4643, v12, -v51
	s_delay_alu instid0(VALU_DEP_1)
	v_add_f32_e32 v16, v54, v16
	v_add_f32_e32 v54, v10, v4
	v_sub_f32_e32 v4, v4, v10
	v_fma_f32 v10, 0xbf1a4643, v13, -v48
	v_fmamk_f32 v43, v13, 0x3f6eb680, v50
	v_fma_f32 v50, 0x3f6eb680, v13, -v50
	v_fmac_f32_e32 v51, 0xbf1a4643, v12
	v_mul_f32_e32 v12, 0xbf4c4adb, v4
	s_delay_alu instid0(VALU_DEP_4) | instskip(NEXT) | instid1(VALU_DEP_4)
	v_dual_add_f32 v10, v10, v20 :: v_dual_add_f32 v43, v43, v55
	v_dual_mul_f32 v55, 0xbf4c4adb, v52 :: v_dual_add_f32 v50, v50, v53
	v_fmamk_f32 v53, v13, 0xbf1a4643, v48
	v_mul_f32_e32 v48, 0xbeb8f4ab, v52
	v_fmamk_f32 v20, v5, 0xbf1a4643, v12
	s_delay_alu instid0(VALU_DEP_4) | instskip(SKIP_3) | instid1(VALU_DEP_4)
	v_fma_f32 v11, 0xbf1a4643, v54, -v55
	v_fma_f32 v12, 0xbf1a4643, v5, -v12
	v_add_f32_e32 v13, v53, v17
	v_add_f32_e32 v17, v51, v24
	v_dual_mul_f32 v24, 0x3f763a35, v4 :: v_dual_add_f32 v11, v11, v21
	v_dual_mul_f32 v21, 0x3f763a35, v52 :: v_dual_add_f32 v20, v20, v25
	s_delay_alu instid0(VALU_DEP_2) | instskip(SKIP_1) | instid1(VALU_DEP_3)
	v_dual_add_f32 v12, v12, v19 :: v_dual_fmamk_f32 v19, v5, 0xbe8c1d8e, v24
	v_fma_f32 v24, 0xbe8c1d8e, v5, -v24
	v_fma_f32 v25, 0xbe8c1d8e, v54, -v21
	v_fmac_f32_e32 v21, 0xbe8c1d8e, v54
	v_mul_f32_e32 v51, 0xbf06c442, v4
	v_dual_add_f32 v19, v19, v26 :: v_dual_mul_f32 v26, 0xbeb8f4ab, v4
	s_delay_alu instid0(VALU_DEP_4) | instskip(SKIP_4) | instid1(VALU_DEP_4)
	v_add_f32_e32 v23, v25, v23
	v_fma_f32 v25, 0x3f6eb680, v54, -v48
	v_add_f32_e32 v21, v21, v27
	v_dual_mul_f32 v27, 0xbf06c442, v52 :: v_dual_add_f32 v24, v24, v29
	v_fmamk_f32 v29, v5, 0x3f6eb680, v26
	v_add_f32_e32 v25, v25, v30
	v_fmac_f32_e32 v48, 0x3f6eb680, v54
	v_fma_f32 v26, 0x3f6eb680, v5, -v26
	v_fma_f32 v30, 0xbf59a7d5, v54, -v27
	v_add_f32_e32 v29, v29, v32
	v_fmamk_f32 v32, v5, 0xbf59a7d5, v51
	v_add_f32_e32 v22, v48, v22
	v_add_f32_e32 v26, v26, v35
	v_dual_add_f32 v30, v30, v33 :: v_dual_mul_f32 v33, 0x3f7ee86f, v52
	v_fmac_f32_e32 v27, 0xbf59a7d5, v54
	v_fma_f32 v35, 0xbf59a7d5, v5, -v51
	v_mul_f32_e32 v48, 0x3f7ee86f, v4
	v_add_f32_e32 v32, v32, v38
	v_fma_f32 v38, 0x3dbcf732, v54, -v33
	v_add_f32_e32 v27, v27, v34
	s_delay_alu instid0(VALU_DEP_4) | instskip(SKIP_1) | instid1(VALU_DEP_4)
	v_dual_add_f32 v34, v35, v36 :: v_dual_fmamk_f32 v35, v5, 0x3dbcf732, v48
	v_mul_f32_e32 v36, 0xbf2c7751, v52
	v_add_f32_e32 v38, v38, v40
	v_fma_f32 v40, 0x3dbcf732, v5, -v48
	v_mul_f32_e32 v48, 0xbf2c7751, v4
	v_fmac_f32_e32 v33, 0x3dbcf732, v54
	v_add_f32_e32 v35, v35, v41
	v_fma_f32 v41, 0x3f3d2fb0, v54, -v36
	v_fmac_f32_e32 v36, 0x3f3d2fb0, v54
	v_mul_f32_e32 v51, 0xbe3c28d5, v4
	v_dual_add_f32 v33, v33, v39 :: v_dual_mul_f32 v4, 0x3f65296c, v4
	v_add_f32_e32 v39, v40, v42
	v_add_f32_e32 v41, v41, v44
	v_fmamk_f32 v42, v5, 0x3f3d2fb0, v48
	v_fma_f32 v44, 0x3f3d2fb0, v5, -v48
	v_mul_f32_e32 v40, 0xbe3c28d5, v52
	v_add_f32_e32 v36, v36, v37
	s_delay_alu instid0(VALU_DEP_3)
	v_dual_add_f32 v42, v42, v46 :: v_dual_add_f32 v37, v44, v45
	v_fmamk_f32 v45, v5, 0xbf7ba420, v51
	v_mul_f32_e32 v46, 0x3f65296c, v52
	v_fma_f32 v48, 0xbf7ba420, v54, -v40
	v_fmac_f32_e32 v40, 0xbf7ba420, v54
	v_fmac_f32_e32 v55, 0xbf1a4643, v54
	v_add_f32_e32 v43, v45, v43
	v_fma_f32 v45, 0x3ee437d1, v54, -v46
	v_add_f32_e32 v44, v48, v47
	v_fma_f32 v47, 0xbf7ba420, v5, -v51
	v_fmamk_f32 v48, v5, 0x3ee437d1, v4
	v_add_f32_e32 v40, v40, v49
	v_add_f32_e32 v16, v45, v16
	v_fma_f32 v4, 0x3ee437d1, v5, -v4
	v_add_f32_e32 v5, v9, v7
	v_sub_f32_e32 v49, v7, v9
	v_dual_add_f32 v45, v8, v6 :: v_dual_sub_f32 v6, v6, v8
	v_fmac_f32_e32 v46, 0x3ee437d1, v54
	v_add_f32_e32 v18, v55, v18
	s_delay_alu instid0(VALU_DEP_4)
	v_mul_f32_e32 v8, 0xbf06c442, v49
	v_add_f32_e32 v4, v4, v10
	v_mul_f32_e32 v7, 0xbf06c442, v6
	v_add_f32_e32 v17, v46, v17
	v_add_f32_e32 v13, v48, v13
	v_fma_f32 v9, 0xbf59a7d5, v45, -v8
	v_fmac_f32_e32 v8, 0xbf59a7d5, v45
	v_fmamk_f32 v46, v5, 0xbf59a7d5, v7
	s_delay_alu instid0(VALU_DEP_2) | instskip(NEXT) | instid1(VALU_DEP_2)
	v_dual_add_f32 v9, v9, v11 :: v_dual_add_f32 v8, v8, v18
	v_add_f32_e32 v20, v46, v20
	v_mul_f32_e32 v46, 0x3f65296c, v6
	s_delay_alu instid0(VALU_DEP_1) | instskip(SKIP_1) | instid1(VALU_DEP_2)
	v_fmamk_f32 v18, v5, 0x3ee437d1, v46
	v_dual_mul_f32 v10, 0x3f65296c, v49 :: v_dual_add_f32 v47, v47, v50
	v_add_f32_e32 v18, v18, v19
	s_delay_alu instid0(VALU_DEP_2) | instskip(NEXT) | instid1(VALU_DEP_1)
	v_fma_f32 v11, 0x3ee437d1, v45, -v10
	v_add_f32_e32 v11, v11, v23
	v_fma_f32 v23, 0x3ee437d1, v5, -v46
	s_delay_alu instid0(VALU_DEP_1) | instskip(SKIP_3) | instid1(VALU_DEP_2)
	v_dual_mul_f32 v46, 0xbf7ee86f, v6 :: v_dual_add_f32 v19, v23, v24
	v_mul_f32_e32 v24, 0x3f4c4adb, v49
	v_fmac_f32_e32 v10, 0x3ee437d1, v45
	v_fma_f32 v7, 0xbf59a7d5, v5, -v7
	v_dual_add_f32 v10, v10, v21 :: v_dual_fmamk_f32 v21, v5, 0x3dbcf732, v46
	s_delay_alu instid0(VALU_DEP_1) | instskip(SKIP_1) | instid1(VALU_DEP_4)
	v_add_f32_e32 v21, v21, v29
	v_mul_f32_e32 v29, 0x3f4c4adb, v6
	v_dual_add_f32 v7, v7, v12 :: v_dual_mul_f32 v12, 0xbf7ee86f, v49
	s_delay_alu instid0(VALU_DEP_1) | instskip(SKIP_1) | instid1(VALU_DEP_2)
	v_fma_f32 v48, 0x3dbcf732, v45, -v12
	v_fmac_f32_e32 v12, 0x3dbcf732, v45
	v_add_f32_e32 v23, v48, v25
	v_fma_f32 v25, 0x3dbcf732, v5, -v46
	v_fma_f32 v46, 0xbf1a4643, v45, -v24
	s_delay_alu instid0(VALU_DEP_4) | instskip(SKIP_1) | instid1(VALU_DEP_4)
	v_add_f32_e32 v12, v12, v22
	v_fmac_f32_e32 v24, 0xbf1a4643, v45
	v_add_f32_e32 v22, v25, v26
	v_fmamk_f32 v26, v5, 0xbf1a4643, v29
	v_fma_f32 v29, 0xbf1a4643, v5, -v29
	s_delay_alu instid0(VALU_DEP_4) | instskip(SKIP_1) | instid1(VALU_DEP_4)
	v_add_f32_e32 v24, v24, v27
	v_add_f32_e32 v30, v46, v30
	;; [unrolled: 1-line block ×3, first 2 shown]
	v_mul_f32_e32 v32, 0xbeb8f4ab, v6
	v_dual_add_f32 v27, v29, v34 :: v_dual_mul_f32 v34, 0xbe3c28d5, v49
	s_delay_alu instid0(VALU_DEP_1) | instskip(SKIP_1) | instid1(VALU_DEP_1)
	v_fma_f32 v48, 0xbf7ba420, v45, -v34
	v_fmac_f32_e32 v34, 0xbf7ba420, v45
	v_dual_mul_f32 v25, 0xbeb8f4ab, v49 :: v_dual_add_f32 v34, v34, v36
	s_delay_alu instid0(VALU_DEP_1) | instskip(SKIP_1) | instid1(VALU_DEP_2)
	v_fma_f32 v46, 0x3f6eb680, v45, -v25
	v_fmac_f32_e32 v25, 0x3f6eb680, v45
	v_dual_add_f32 v29, v46, v38 :: v_dual_fmamk_f32 v38, v5, 0x3f6eb680, v32
	v_fma_f32 v32, 0x3f6eb680, v5, -v32
	s_delay_alu instid0(VALU_DEP_3) | instskip(NEXT) | instid1(VALU_DEP_3)
	v_dual_mul_f32 v46, 0xbe3c28d5, v6 :: v_dual_add_f32 v25, v25, v33
	v_dual_add_f32 v35, v38, v35 :: v_dual_add_f32 v38, v48, v41
	s_delay_alu instid0(VALU_DEP_2) | instskip(SKIP_2) | instid1(VALU_DEP_3)
	v_dual_add_f32 v32, v32, v39 :: v_dual_fmamk_f32 v33, v5, 0xbf7ba420, v46
	v_mul_f32_e32 v39, 0x3f2c7751, v49
	v_fma_f32 v41, 0xbf7ba420, v5, -v46
	v_add_f32_e32 v33, v33, v42
	v_mul_f32_e32 v42, 0x3f2c7751, v6
	s_delay_alu instid0(VALU_DEP_4) | instskip(SKIP_3) | instid1(VALU_DEP_4)
	v_fma_f32 v46, 0x3f3d2fb0, v45, -v39
	v_fmac_f32_e32 v39, 0x3f3d2fb0, v45
	v_add_f32_e32 v36, v41, v37
	v_dual_mul_f32 v37, 0xbf763a35, v49 :: v_dual_mul_f32 v6, 0xbf763a35, v6
	v_dual_fmamk_f32 v41, v5, 0x3f3d2fb0, v42 :: v_dual_add_f32 v44, v46, v44
	v_fma_f32 v42, 0x3f3d2fb0, v5, -v42
	s_delay_alu instid0(VALU_DEP_3) | instskip(SKIP_1) | instid1(VALU_DEP_3)
	v_fma_f32 v46, 0xbe8c1d8e, v45, -v37
	v_add_f32_e32 v39, v39, v40
	v_dual_fmac_f32 v37, 0xbe8c1d8e, v45 :: v_dual_add_f32 v40, v42, v47
	s_delay_alu instid0(VALU_DEP_3)
	v_add_f32_e32 v42, v46, v16
	v_add_f32_e32 v46, v2, v0
	v_fmamk_f32 v16, v5, 0xbe8c1d8e, v6
	v_add_f32_e32 v41, v41, v43
	v_add_f32_e32 v47, v3, v1
	v_sub_f32_e32 v43, v1, v3
	v_sub_f32_e32 v45, v0, v2
	v_fma_f32 v0, 0xbe8c1d8e, v5, -v6
	v_add_f32_e32 v48, v16, v13
	s_delay_alu instid0(VALU_DEP_3) | instskip(NEXT) | instid1(VALU_DEP_1)
	v_mul_f32_e32 v1, 0xbe3c28d5, v45
	v_dual_add_f32 v49, v0, v4 :: v_dual_fmamk_f32 v4, v47, 0xbf7ba420, v1
	v_mul_f32_e32 v2, 0xbe3c28d5, v43
	v_mul_f32_e32 v6, 0x3eb8f4ab, v43
	;; [unrolled: 1-line block ×3, first 2 shown]
	v_dual_add_f32 v37, v37, v17 :: v_dual_mul_f32 v16, 0x3f2c7751, v43
	s_delay_alu instid0(VALU_DEP_4) | instskip(SKIP_1) | instid1(VALU_DEP_2)
	v_fma_f32 v3, 0xbf7ba420, v46, -v2
	v_fmac_f32_e32 v2, 0xbf7ba420, v46
	v_add_f32_e32 v0, v3, v9
	v_fma_f32 v3, 0xbf7ba420, v47, -v1
	v_add_f32_e32 v1, v4, v20
	v_fma_f32 v4, 0x3f6eb680, v46, -v6
	v_fmac_f32_e32 v6, 0x3f6eb680, v46
	v_mul_f32_e32 v5, 0x3eb8f4ab, v45
	v_fma_f32 v9, 0xbf59a7d5, v46, -v13
	v_fmac_f32_e32 v13, 0xbf59a7d5, v46
	s_delay_alu instid0(VALU_DEP_4) | instskip(NEXT) | instid1(VALU_DEP_4)
	v_dual_add_f32 v3, v3, v7 :: v_dual_add_f32 v6, v6, v10
	v_dual_fmamk_f32 v7, v47, 0x3f6eb680, v5 :: v_dual_add_f32 v2, v2, v8
	v_fma_f32 v8, 0x3f6eb680, v47, -v5
	v_add_f32_e32 v4, v4, v11
	s_delay_alu instid0(VALU_DEP_3) | instskip(SKIP_1) | instid1(VALU_DEP_4)
	v_dual_mul_f32 v20, 0xbf4c4adb, v43 :: v_dual_add_f32 v5, v7, v18
	v_fma_f32 v18, 0x3f3d2fb0, v46, -v16
	v_dual_add_f32 v7, v8, v19 :: v_dual_fmac_f32 v16, 0x3f3d2fb0, v46
	v_dual_mul_f32 v11, 0xbf06c442, v45 :: v_dual_add_f32 v8, v9, v23
	v_add_f32_e32 v10, v13, v12
	s_delay_alu instid0(VALU_DEP_4) | instskip(NEXT) | instid1(VALU_DEP_4)
	v_add_f32_e32 v12, v18, v30
	v_add_f32_e32 v16, v16, v24
	v_fma_f32 v18, 0xbf1a4643, v46, -v20
	v_fmamk_f32 v9, v47, 0xbf59a7d5, v11
	v_fma_f32 v11, 0xbf59a7d5, v47, -v11
	v_mul_f32_e32 v19, 0xbf4c4adb, v45
	v_mul_f32_e32 v24, 0x3f65296c, v43
	v_add_f32_e32 v18, v18, v29
	v_add_f32_e32 v9, v9, v21
	;; [unrolled: 1-line block ×3, first 2 shown]
	v_fmamk_f32 v21, v47, 0xbf1a4643, v19
	v_fma_f32 v22, 0xbf1a4643, v47, -v19
	v_fma_f32 v23, 0x3ee437d1, v46, -v24
	v_mul_f32_e32 v17, 0x3f2c7751, v45
	s_delay_alu instid0(VALU_DEP_4) | instskip(NEXT) | instid1(VALU_DEP_4)
	v_dual_fmac_f32 v24, 0x3ee437d1, v46 :: v_dual_add_f32 v19, v21, v35
	v_dual_add_f32 v21, v22, v32 :: v_dual_mul_f32 v30, 0xbf763a35, v45
	s_delay_alu instid0(VALU_DEP_4) | instskip(NEXT) | instid1(VALU_DEP_3)
	v_add_f32_e32 v22, v23, v38
	v_dual_fmamk_f32 v13, v47, 0x3f3d2fb0, v17 :: v_dual_add_f32 v24, v24, v34
	v_fma_f32 v17, 0x3f3d2fb0, v47, -v17
	v_mul_f32_e32 v34, 0x3f7ee86f, v43
	s_delay_alu instid0(VALU_DEP_3) | instskip(NEXT) | instid1(VALU_DEP_3)
	v_dual_mul_f32 v32, 0x3f7ee86f, v45 :: v_dual_add_f32 v13, v13, v26
	v_dual_mul_f32 v26, 0x3f65296c, v45 :: v_dual_add_f32 v17, v17, v27
	v_fmac_f32_e32 v20, 0xbf1a4643, v46
	v_fmamk_f32 v27, v47, 0xbe8c1d8e, v30
	s_delay_alu instid0(VALU_DEP_4) | instskip(NEXT) | instid1(VALU_DEP_4)
	v_fmamk_f32 v35, v47, 0x3dbcf732, v32
	v_fmamk_f32 v23, v47, 0x3ee437d1, v26
	v_fma_f32 v30, 0xbe8c1d8e, v47, -v30
	v_add_f32_e32 v20, v20, v25
	v_fma_f32 v25, 0x3ee437d1, v47, -v26
	v_add_f32_e32 v27, v27, v41
	v_add_f32_e32 v23, v23, v33
	v_fma_f32 v33, 0x3dbcf732, v46, -v34
	v_fmac_f32_e32 v34, 0x3dbcf732, v46
	v_mul_f32_e32 v29, 0xbf763a35, v43
	v_add_f32_e32 v25, v25, v36
	v_fma_f32 v36, 0x3dbcf732, v47, -v32
	v_add_f32_e32 v32, v33, v42
	v_add_f32_e32 v34, v34, v37
	v_fma_f32 v26, 0xbe8c1d8e, v46, -v29
	v_fmac_f32_e32 v29, 0xbe8c1d8e, v46
	v_add_f32_e32 v33, v35, v48
	v_dual_add_f32 v35, v36, v49 :: v_dual_add_f32 v30, v30, v40
	s_delay_alu instid0(VALU_DEP_3)
	v_dual_add_f32 v26, v26, v44 :: v_dual_add_f32 v29, v29, v39
	ds_store_2addr_b64 v31, v[14:15], v[0:1] offset1:1
	ds_store_2addr_b64 v31, v[4:5], v[8:9] offset0:2 offset1:3
	ds_store_2addr_b64 v31, v[12:13], v[18:19] offset0:4 offset1:5
	;; [unrolled: 1-line block ×7, first 2 shown]
	ds_store_b64 v31, v[2:3] offset:128
	global_wb scope:SCOPE_SE
	s_wait_dscnt 0x0
	s_barrier_signal -1
	s_barrier_wait -1
	global_inv scope:SCOPE_SE
	ds_load_2addr_b64 v[0:3], v31 offset1:1
	ds_load_2addr_b64 v[4:7], v31 offset0:2 offset1:3
	s_load_b512 s[68:83], s[2:3], 0xc0
	ds_load_2addr_b64 v[8:11], v31 offset0:4 offset1:5
	s_wait_dscnt 0x2
	v_dual_mul_f32 v12, s39, v1 :: v_dual_mul_f32 v13, s41, v3
	v_mul_f32_e32 v19, s41, v2
	s_wait_dscnt 0x1
	v_mul_f32_e32 v21, s43, v4
	v_mul_f32_e32 v23, s45, v6
	v_fma_f32 v16, v0, s38, -v12
	v_fma_f32 v18, v2, s40, -v13
	ds_load_2addr_b64 v[12:15], v31 offset0:6 offset1:7
	v_dual_mul_f32 v17, s39, v0 :: v_dual_mul_f32 v0, s43, v5
	v_fmac_f32_e32 v19, s40, v3
	v_fmac_f32_e32 v21, s42, v5
	;; [unrolled: 1-line block ×3, first 2 shown]
	s_delay_alu instid0(VALU_DEP_4)
	v_fmac_f32_e32 v17, s38, v1
	v_mul_f32_e32 v1, s45, v7
	v_fma_f32 v20, v4, s42, -v0
	s_wait_dscnt 0x1
	v_mul_f32_e32 v4, s47, v9
	v_dual_mul_f32 v24, s47, v8 :: v_dual_mul_f32 v5, s49, v11
	v_fma_f32 v22, v6, s44, -v1
	ds_load_2addr_b64 v[0:3], v31 offset0:8 offset1:9
	s_wait_dscnt 0x1
	s_wait_kmcnt 0x0
	v_dual_fmac_f32 v24, s46, v9 :: v_dual_mul_f32 v9, s69, v15
	s_wait_dscnt 0x0
	v_mul_f32_e32 v26, s73, v3
	ds_store_2addr_b64 v31, v[16:17], v[18:19] offset1:1
	ds_store_2addr_b64 v31, v[20:21], v[22:23] offset0:2 offset1:3
	v_mul_f32_e32 v17, s49, v10
	v_fma_f32 v23, v8, s46, -v4
	v_fma_f32 v16, v10, s48, -v5
	v_mul_f32_e32 v8, s51, v13
	ds_load_2addr_b64 v[4:7], v31 offset0:10 offset1:11
	v_mul_f32_e32 v19, s51, v12
	v_mul_f32_e32 v21, s69, v14
	v_fmac_f32_e32 v17, s48, v11
	v_fma_f32 v18, v12, s50, -v8
	v_fma_f32 v20, v14, s68, -v9
	v_fmac_f32_e32 v19, s50, v13
	v_fmac_f32_e32 v21, s68, v15
	ds_load_2addr_b64 v[8:11], v31 offset0:12 offset1:13
	ds_store_2addr_b64 v31, v[23:24], v[16:17] offset0:4 offset1:5
	ds_store_2addr_b64 v31, v[18:19], v[20:21] offset0:6 offset1:7
	ds_load_2addr_b64 v[12:15], v31 offset0:14 offset1:15
	ds_load_b64 v[18:19], v31 offset:128
	s_load_b128 s[24:27], s[2:3], 0x100
	v_dual_mul_f32 v25, s71, v1 :: v_dual_mul_f32 v22, s71, v0
	s_mov_b32 s2, 0x1e1e1e1e
	s_mov_b32 s3, 0x3fae1e1e
	s_delay_alu instid0(VALU_DEP_1) | instskip(NEXT) | instid1(VALU_DEP_2)
	v_fma_f32 v21, v0, s70, -v25
	v_fmac_f32_e32 v22, s70, v1
	v_fma_f32 v0, v2, s72, -v26
	s_wait_dscnt 0x5
	v_dual_mul_f32 v1, s73, v2 :: v_dual_mul_f32 v2, s75, v5
	v_dual_mul_f32 v17, s75, v4 :: v_dual_mul_f32 v20, s77, v7
	s_delay_alu instid0(VALU_DEP_2) | instskip(NEXT) | instid1(VALU_DEP_3)
	v_dual_mul_f32 v24, s77, v6 :: v_dual_fmac_f32 v1, s72, v3
	v_fma_f32 v16, v4, s74, -v2
	s_wait_dscnt 0x4
	v_dual_mul_f32 v2, s79, v9 :: v_dual_mul_f32 v3, s79, v8
	v_dual_fmac_f32 v17, s74, v5 :: v_dual_mul_f32 v4, s81, v11
	v_mul_f32_e32 v5, s81, v10
	v_fma_f32 v23, v6, s76, -v20
	v_fmac_f32_e32 v24, s76, v7
	s_wait_dscnt 0x1
	v_mul_f32_e32 v6, s83, v13
	v_fma_f32 v2, v8, s78, -v2
	v_fmac_f32_e32 v3, s78, v9
	s_wait_kmcnt 0x0
	v_dual_mul_f32 v7, s83, v12 :: v_dual_mul_f32 v8, s25, v15
	v_mul_f32_e32 v9, s25, v14
	v_fma_f32 v4, v10, s80, -v4
	v_fmac_f32_e32 v5, s80, v11
	s_wait_dscnt 0x0
	v_dual_mul_f32 v10, s27, v19 :: v_dual_mul_f32 v11, s27, v18
	v_fma_f32 v6, v12, s82, -v6
	v_fmac_f32_e32 v7, s82, v13
	v_fma_f32 v8, v14, s24, -v8
	v_fmac_f32_e32 v9, s24, v15
	;; [unrolled: 2-line block ×3, first 2 shown]
	ds_store_2addr_b64 v31, v[21:22], v[0:1] offset0:8 offset1:9
	ds_store_2addr_b64 v31, v[16:17], v[23:24] offset0:10 offset1:11
	;; [unrolled: 1-line block ×4, first 2 shown]
	ds_store_b64 v31, v[10:11] offset:128
	global_wb scope:SCOPE_SE
	s_wait_dscnt 0x0
	s_barrier_signal -1
	s_barrier_wait -1
	global_inv scope:SCOPE_SE
	ds_load_2addr_b64 v[22:25], v31 offset1:1
	ds_load_2addr_b64 v[32:35], v31 offset0:2 offset1:3
	ds_load_2addr_b64 v[12:15], v31 offset0:4 offset1:5
	;; [unrolled: 1-line block ×3, first 2 shown]
	s_wait_dscnt 0x3
	v_dual_add_f32 v0, v22, v24 :: v_dual_add_f32 v1, v23, v25
	s_wait_dscnt 0x2
	s_delay_alu instid0(VALU_DEP_1) | instskip(NEXT) | instid1(VALU_DEP_1)
	v_dual_add_f32 v0, v0, v32 :: v_dual_add_f32 v1, v1, v33
	v_add_f32_e32 v0, v0, v34
	s_wait_dscnt 0x1
	s_delay_alu instid0(VALU_DEP_1) | instskip(SKIP_3) | instid1(VALU_DEP_1)
	v_dual_add_f32 v8, v1, v35 :: v_dual_add_f32 v9, v0, v12
	ds_load_2addr_b64 v[0:3], v31 offset0:8 offset1:9
	v_dual_add_f32 v8, v8, v13 :: v_dual_add_f32 v9, v9, v14
	s_wait_dscnt 0x1
	v_dual_add_f32 v16, v8, v15 :: v_dual_add_f32 v17, v9, v4
	ds_load_2addr_b64 v[8:11], v31 offset0:10 offset1:11
	v_dual_add_f32 v16, v16, v5 :: v_dual_add_f32 v17, v17, v6
	s_wait_dscnt 0x1
	s_delay_alu instid0(VALU_DEP_1) | instskip(SKIP_2) | instid1(VALU_DEP_1)
	v_dual_add_f32 v20, v16, v7 :: v_dual_add_f32 v21, v17, v0
	ds_load_2addr_b64 v[16:19], v31 offset0:12 offset1:13
	v_add_f32_e32 v20, v20, v1
	v_dual_add_f32 v26, v21, v2 :: v_dual_add_f32 v27, v20, v3
	ds_load_2addr_b64 v[36:39], v31 offset0:14 offset1:15
	ds_load_b64 v[20:21], v31 offset:128
	s_wait_dscnt 0x3
	v_add_f32_e32 v26, v26, v8
	s_delay_alu instid0(VALU_DEP_1) | instskip(SKIP_1) | instid1(VALU_DEP_1)
	v_add_f32_e32 v26, v26, v10
	s_wait_dscnt 0x2
	v_add_f32_e32 v26, v26, v16
	s_wait_dscnt 0x1
	s_delay_alu instid0(VALU_DEP_1) | instskip(SKIP_3) | instid1(VALU_DEP_3)
	v_dual_add_f32 v26, v26, v18 :: v_dual_sub_f32 v67, v33, v39
	s_wait_dscnt 0x0
	v_sub_f32_e32 v29, v25, v21
	v_dual_add_f32 v25, v21, v25 :: v_dual_add_f32 v30, v20, v24
	v_add_f32_e32 v26, v26, v36
	v_sub_f32_e32 v24, v24, v20
	s_delay_alu instid0(VALU_DEP_3) | instskip(NEXT) | instid1(VALU_DEP_3)
	v_mul_f32_e32 v44, 0x3f3d2fb0, v25
	v_dual_mul_f32 v51, 0x3dbcf732, v25 :: v_dual_add_f32 v26, v26, v38
	s_delay_alu instid0(VALU_DEP_2) | instskip(SKIP_1) | instid1(VALU_DEP_3)
	v_fmamk_f32 v46, v24, 0x3f2c7751, v44
	v_fmac_f32_e32 v44, 0xbf2c7751, v24
	v_add_f32_e32 v20, v26, v20
	s_delay_alu instid0(VALU_DEP_4) | instskip(NEXT) | instid1(VALU_DEP_4)
	v_fmamk_f32 v54, v24, 0x3f7ee86f, v51
	v_add_f32_e32 v46, v23, v46
	s_delay_alu instid0(VALU_DEP_4)
	v_add_f32_e32 v44, v23, v44
	v_mul_f32_e32 v26, 0xbf2c7751, v29
	v_mul_f32_e32 v45, 0xbf65296c, v29
	;; [unrolled: 1-line block ×3, first 2 shown]
	v_add_f32_e32 v54, v23, v54
	v_mul_f32_e32 v56, 0xbe8c1d8e, v25
	v_fmamk_f32 v43, v30, 0x3f3d2fb0, v26
	v_fma_f32 v26, 0x3f3d2fb0, v30, -v26
	v_dual_add_f32 v27, v27, v9 :: v_dual_fmamk_f32 v48, v30, 0x3ee437d1, v45
	v_fmamk_f32 v52, v30, 0x3dbcf732, v50
	v_fma_f32 v50, 0x3dbcf732, v30, -v50
	s_delay_alu instid0(VALU_DEP_3) | instskip(NEXT) | instid1(VALU_DEP_4)
	v_dual_add_f32 v26, v22, v26 :: v_dual_add_f32 v27, v27, v11
	v_dual_add_f32 v48, v22, v48 :: v_dual_mul_f32 v41, 0x3f6eb680, v25
	s_delay_alu instid0(VALU_DEP_3) | instskip(NEXT) | instid1(VALU_DEP_3)
	v_add_f32_e32 v50, v22, v50
	v_dual_add_f32 v52, v22, v52 :: v_dual_add_f32 v27, v27, v17
	v_fmamk_f32 v58, v24, 0x3f763a35, v56
	v_fmac_f32_e32 v56, 0xbf763a35, v24
	v_mul_f32_e32 v59, 0xbf1a4643, v25
	s_delay_alu instid0(VALU_DEP_4) | instskip(NEXT) | instid1(VALU_DEP_4)
	v_dual_mul_f32 v62, 0xbf06c442, v29 :: v_dual_add_f32 v27, v27, v19
	v_add_f32_e32 v58, v23, v58
	s_delay_alu instid0(VALU_DEP_4) | instskip(NEXT) | instid1(VALU_DEP_4)
	v_dual_add_f32 v56, v23, v56 :: v_dual_add_f32 v43, v22, v43
	v_fmamk_f32 v61, v24, 0x3f4c4adb, v59
	s_delay_alu instid0(VALU_DEP_4) | instskip(SKIP_2) | instid1(VALU_DEP_4)
	v_add_f32_e32 v27, v27, v37
	v_mul_f32_e32 v40, 0xbeb8f4ab, v29
	v_mul_f32_e32 v57, 0xbf4c4adb, v29
	v_dual_fmamk_f32 v64, v30, 0xbf59a7d5, v62 :: v_dual_add_f32 v61, v23, v61
	s_delay_alu instid0(VALU_DEP_4) | instskip(SKIP_2) | instid1(VALU_DEP_4)
	v_add_f32_e32 v27, v27, v39
	v_fma_f32 v62, 0xbf59a7d5, v30, -v62
	v_fmamk_f32 v42, v30, 0x3f6eb680, v40
	v_dual_mul_f32 v47, 0x3ee437d1, v25 :: v_dual_add_f32 v64, v22, v64
	s_delay_alu instid0(VALU_DEP_4) | instskip(SKIP_3) | instid1(VALU_DEP_3)
	v_add_f32_e32 v21, v27, v21
	v_fmamk_f32 v27, v24, 0x3eb8f4ab, v41
	v_dual_fmac_f32 v41, 0xbeb8f4ab, v24 :: v_dual_add_f32 v62, v22, v62
	v_mul_f32_e32 v53, 0xbf763a35, v29
	v_dual_fmamk_f32 v60, v30, 0xbf1a4643, v57 :: v_dual_add_f32 v27, v23, v27
	s_delay_alu instid0(VALU_DEP_3)
	v_add_f32_e32 v41, v23, v41
	v_fmac_f32_e32 v59, 0xbf4c4adb, v24
	v_dual_mul_f32 v29, 0xbe3c28d5, v29 :: v_dual_add_f32 v42, v22, v42
	v_fma_f32 v40, 0x3f6eb680, v30, -v40
	v_fmamk_f32 v55, v30, 0xbe8c1d8e, v53
	v_fma_f32 v53, 0xbe8c1d8e, v30, -v53
	v_add_f32_e32 v60, v22, v60
	v_fma_f32 v45, 0x3ee437d1, v30, -v45
	v_fma_f32 v57, 0xbf1a4643, v30, -v57
	v_dual_add_f32 v59, v23, v59 :: v_dual_fmamk_f32 v66, v30, 0xbf7ba420, v29
	v_fmamk_f32 v49, v24, 0x3f65296c, v47
	v_fmac_f32_e32 v47, 0xbf65296c, v24
	v_fma_f32 v29, 0xbf7ba420, v30, -v29
	v_dual_add_f32 v30, v39, v33 :: v_dual_add_f32 v33, v38, v32
	v_mul_f32_e32 v63, 0xbf59a7d5, v25
	v_dual_mul_f32 v25, 0xbf7ba420, v25 :: v_dual_add_f32 v66, v22, v66
	v_add_f32_e32 v49, v23, v49
	v_mul_f32_e32 v39, 0xbf2c7751, v67
	s_delay_alu instid0(VALU_DEP_3)
	v_dual_add_f32 v45, v22, v45 :: v_dual_fmamk_f32 v68, v24, 0x3e3c28d5, v25
	v_fmac_f32_e32 v51, 0xbf7ee86f, v24
	v_add_f32_e32 v53, v22, v53
	v_fmamk_f32 v65, v24, 0x3f06c442, v63
	v_fmac_f32_e32 v63, 0xbf06c442, v24
	v_dual_fmac_f32 v25, 0xbe3c28d5, v24 :: v_dual_sub_f32 v24, v32, v38
	v_mul_f32_e32 v32, 0x3f3d2fb0, v30
	v_add_f32_e32 v38, v23, v68
	v_fmamk_f32 v68, v33, 0x3f3d2fb0, v39
	v_dual_add_f32 v40, v22, v40 :: v_dual_add_f32 v47, v23, v47
	v_add_f32_e32 v63, v23, v63
	v_fma_f32 v39, 0x3f3d2fb0, v33, -v39
	s_delay_alu instid0(VALU_DEP_4)
	v_dual_add_f32 v42, v68, v42 :: v_dual_add_f32 v55, v22, v55
	v_dual_mul_f32 v68, 0x3dbcf732, v30 :: v_dual_add_f32 v57, v22, v57
	v_dual_add_f32 v22, v22, v29 :: v_dual_add_f32 v51, v23, v51
	v_mul_f32_e32 v29, 0xbf7ee86f, v67
	v_mul_f32_e32 v69, 0xbf1a4643, v30
	v_add_f32_e32 v65, v23, v65
	v_add_f32_e32 v23, v23, v25
	v_fmamk_f32 v25, v24, 0x3f2c7751, v32
	v_fmac_f32_e32 v32, 0xbf2c7751, v24
	v_dual_add_f32 v39, v39, v40 :: v_dual_mul_f32 v40, 0xbf4c4adb, v67
	s_delay_alu instid0(VALU_DEP_2) | instskip(SKIP_4) | instid1(VALU_DEP_2)
	v_dual_add_f32 v25, v25, v27 :: v_dual_add_f32 v32, v32, v41
	v_fmamk_f32 v41, v24, 0x3f7ee86f, v68
	v_fmac_f32_e32 v68, 0xbf7ee86f, v24
	v_fmamk_f32 v27, v33, 0x3dbcf732, v29
	v_fma_f32 v29, 0x3dbcf732, v33, -v29
	v_add_f32_e32 v27, v27, v43
	v_fmamk_f32 v43, v33, 0xbf1a4643, v40
	s_delay_alu instid0(VALU_DEP_3) | instskip(SKIP_2) | instid1(VALU_DEP_4)
	v_dual_add_f32 v26, v29, v26 :: v_dual_add_f32 v29, v68, v44
	v_fmamk_f32 v44, v24, 0x3f4c4adb, v69
	v_fma_f32 v40, 0xbf1a4643, v33, -v40
	v_add_f32_e32 v43, v43, v48
	v_fmac_f32_e32 v69, 0xbf4c4adb, v24
	v_mul_f32_e32 v48, 0xbf7ba420, v30
	v_add_f32_e32 v44, v44, v49
	s_delay_alu instid0(VALU_DEP_3) | instskip(NEXT) | instid1(VALU_DEP_3)
	v_dual_add_f32 v40, v40, v45 :: v_dual_add_f32 v45, v69, v47
	v_fmamk_f32 v47, v24, 0x3e3c28d5, v48
	v_fmac_f32_e32 v48, 0xbe3c28d5, v24
	v_mul_f32_e32 v69, 0xbe8c1d8e, v30
	v_dual_add_f32 v41, v41, v46 :: v_dual_mul_f32 v46, 0xbe3c28d5, v67
	s_delay_alu instid0(VALU_DEP_4) | instskip(SKIP_1) | instid1(VALU_DEP_3)
	v_dual_mul_f32 v68, 0x3f06c442, v67 :: v_dual_add_f32 v47, v47, v54
	v_mul_f32_e32 v54, 0xbf59a7d5, v30
	v_dual_add_f32 v48, v48, v51 :: v_dual_fmamk_f32 v49, v33, 0xbf7ba420, v46
	v_fma_f32 v46, 0xbf7ba420, v33, -v46
	s_delay_alu instid0(VALU_DEP_2) | instskip(SKIP_1) | instid1(VALU_DEP_3)
	v_add_f32_e32 v49, v49, v52
	v_fmamk_f32 v52, v33, 0xbf59a7d5, v68
	v_add_f32_e32 v46, v46, v50
	v_mul_f32_e32 v50, 0x3f763a35, v67
	s_delay_alu instid0(VALU_DEP_3)
	v_add_f32_e32 v51, v52, v55
	v_fmamk_f32 v52, v24, 0xbf06c442, v54
	v_fmac_f32_e32 v54, 0x3f06c442, v24
	v_fma_f32 v55, 0xbf59a7d5, v33, -v68
	v_fmamk_f32 v68, v33, 0xbe8c1d8e, v50
	v_fma_f32 v50, 0xbe8c1d8e, v33, -v50
	v_add_f32_e32 v52, v52, v58
	v_add_f32_e32 v54, v54, v56
	v_fmamk_f32 v56, v24, 0xbf763a35, v69
	v_dual_mul_f32 v58, 0x3f65296c, v67 :: v_dual_add_f32 v53, v55, v53
	v_dual_add_f32 v55, v68, v60 :: v_dual_mul_f32 v60, 0x3ee437d1, v30
	s_delay_alu instid0(VALU_DEP_2)
	v_dual_add_f32 v56, v56, v61 :: v_dual_fmamk_f32 v61, v33, 0x3ee437d1, v58
	v_fma_f32 v58, 0x3ee437d1, v33, -v58
	v_mul_f32_e32 v30, 0x3f6eb680, v30
	v_dual_mul_f32 v67, 0x3eb8f4ab, v67 :: v_dual_add_f32 v50, v50, v57
	v_fmamk_f32 v57, v24, 0xbf65296c, v60
	v_fmac_f32_e32 v60, 0x3f65296c, v24
	v_add_f32_e32 v58, v58, v62
	v_dual_sub_f32 v62, v35, v37 :: v_dual_add_f32 v61, v61, v64
	v_fmamk_f32 v64, v33, 0x3f6eb680, v67
	s_delay_alu instid0(VALU_DEP_4) | instskip(SKIP_2) | instid1(VALU_DEP_4)
	v_dual_add_f32 v57, v57, v65 :: v_dual_add_f32 v60, v60, v63
	v_add_f32_e32 v35, v37, v35
	v_add_f32_e32 v65, v36, v34
	v_add_f32_e32 v63, v64, v66
	v_fmamk_f32 v64, v24, 0xbeb8f4ab, v30
	v_mul_f32_e32 v66, 0xbf65296c, v62
	v_fmac_f32_e32 v30, 0x3eb8f4ab, v24
	v_fma_f32 v33, 0x3f6eb680, v33, -v67
	s_delay_alu instid0(VALU_DEP_4) | instskip(NEXT) | instid1(VALU_DEP_4)
	v_dual_add_f32 v37, v64, v38 :: v_dual_mul_f32 v64, 0xbe8c1d8e, v35
	v_fma_f32 v38, 0x3ee437d1, v65, -v66
	s_delay_alu instid0(VALU_DEP_3) | instskip(NEXT) | instid1(VALU_DEP_2)
	v_add_f32_e32 v22, v33, v22
	v_dual_add_f32 v38, v38, v39 :: v_dual_fmac_f32 v69, 0x3f763a35, v24
	v_sub_f32_e32 v24, v34, v36
	v_mul_f32_e32 v36, 0x3ee437d1, v35
	v_dual_fmamk_f32 v34, v65, 0x3ee437d1, v66 :: v_dual_add_f32 v23, v30, v23
	s_delay_alu instid0(VALU_DEP_2) | instskip(SKIP_1) | instid1(VALU_DEP_3)
	v_fmamk_f32 v33, v24, 0x3f65296c, v36
	v_fmac_f32_e32 v36, 0xbf65296c, v24
	v_add_f32_e32 v30, v34, v42
	s_delay_alu instid0(VALU_DEP_3) | instskip(NEXT) | instid1(VALU_DEP_3)
	v_dual_mul_f32 v34, 0xbf4c4adb, v62 :: v_dual_add_f32 v25, v33, v25
	v_add_f32_e32 v32, v36, v32
	s_delay_alu instid0(VALU_DEP_2) | instskip(NEXT) | instid1(VALU_DEP_1)
	v_dual_mul_f32 v42, 0xbf1a4643, v35 :: v_dual_fmamk_f32 v33, v65, 0xbf1a4643, v34
	v_dual_fmamk_f32 v36, v24, 0x3f4c4adb, v42 :: v_dual_add_f32 v27, v33, v27
	v_fma_f32 v33, 0xbf1a4643, v65, -v34
	v_fmac_f32_e32 v42, 0xbf4c4adb, v24
	s_delay_alu instid0(VALU_DEP_3) | instskip(SKIP_1) | instid1(VALU_DEP_3)
	v_dual_add_f32 v34, v36, v41 :: v_dual_add_f32 v59, v69, v59
	v_mul_f32_e32 v41, 0xbf7ba420, v35
	v_dual_add_f32 v29, v42, v29 :: v_dual_add_f32 v26, v33, v26
	v_mul_f32_e32 v33, 0x3f763a35, v62
	s_delay_alu instid0(VALU_DEP_3) | instskip(SKIP_1) | instid1(VALU_DEP_2)
	v_fmamk_f32 v42, v24, 0xbe3c28d5, v41
	v_fmac_f32_e32 v41, 0x3e3c28d5, v24
	v_dual_mul_f32 v39, 0x3e3c28d5, v62 :: v_dual_add_f32 v42, v42, v44
	v_mul_f32_e32 v44, 0x3f2c7751, v62
	s_delay_alu instid0(VALU_DEP_2) | instskip(SKIP_1) | instid1(VALU_DEP_2)
	v_fmamk_f32 v36, v65, 0xbf7ba420, v39
	v_fma_f32 v39, 0xbf7ba420, v65, -v39
	v_dual_add_f32 v36, v36, v43 :: v_dual_fmamk_f32 v43, v65, 0xbe8c1d8e, v33
	s_delay_alu instid0(VALU_DEP_2) | instskip(SKIP_1) | instid1(VALU_DEP_3)
	v_dual_add_f32 v39, v39, v40 :: v_dual_add_f32 v40, v41, v45
	v_mul_f32_e32 v45, 0x3f3d2fb0, v35
	v_add_f32_e32 v41, v43, v49
	v_fmamk_f32 v43, v24, 0xbf763a35, v64
	v_fmac_f32_e32 v64, 0x3f763a35, v24
	v_fma_f32 v33, 0xbe8c1d8e, v65, -v33
	v_mul_f32_e32 v49, 0xbeb8f4ab, v62
	s_delay_alu instid0(VALU_DEP_2) | instskip(SKIP_3) | instid1(VALU_DEP_3)
	v_dual_add_f32 v33, v33, v46 :: v_dual_add_f32 v46, v64, v48
	v_fmamk_f32 v48, v24, 0xbf2c7751, v45
	v_fmac_f32_e32 v45, 0x3f2c7751, v24
	v_mul_f32_e32 v64, 0x3dbcf732, v35
	v_add_f32_e32 v48, v48, v52
	v_mul_f32_e32 v52, 0x3f6eb680, v35
	v_add_f32_e32 v43, v43, v47
	v_add_f32_e32 v45, v45, v54
	v_mul_f32_e32 v35, 0xbf59a7d5, v35
	s_delay_alu instid0(VALU_DEP_4) | instskip(SKIP_3) | instid1(VALU_DEP_4)
	v_fmamk_f32 v54, v24, 0x3eb8f4ab, v52
	v_fmac_f32_e32 v52, 0xbeb8f4ab, v24
	v_fmamk_f32 v47, v65, 0x3f3d2fb0, v44
	v_fma_f32 v44, 0x3f3d2fb0, v65, -v44
	v_add_f32_e32 v54, v54, v56
	s_delay_alu instid0(VALU_DEP_3) | instskip(NEXT) | instid1(VALU_DEP_3)
	v_dual_mul_f32 v56, 0xbf06c442, v62 :: v_dual_add_f32 v47, v47, v51
	v_dual_fmamk_f32 v51, v65, 0x3f6eb680, v49 :: v_dual_add_f32 v44, v44, v53
	v_mul_f32_e32 v53, 0xbf7ee86f, v62
	v_fma_f32 v49, 0x3f6eb680, v65, -v49
	s_delay_alu instid0(VALU_DEP_3) | instskip(NEXT) | instid1(VALU_DEP_3)
	v_add_f32_e32 v51, v51, v55
	v_fmamk_f32 v55, v65, 0x3dbcf732, v53
	s_delay_alu instid0(VALU_DEP_3) | instskip(NEXT) | instid1(VALU_DEP_2)
	v_dual_add_f32 v49, v49, v50 :: v_dual_add_f32 v50, v52, v59
	v_dual_fmamk_f32 v59, v24, 0x3f06c442, v35 :: v_dual_add_f32 v52, v55, v61
	v_fmamk_f32 v55, v24, 0x3f7ee86f, v64
	v_fmac_f32_e32 v64, 0xbf7ee86f, v24
	v_fma_f32 v53, 0x3dbcf732, v65, -v53
	s_delay_alu instid0(VALU_DEP_4) | instskip(SKIP_1) | instid1(VALU_DEP_3)
	v_add_f32_e32 v37, v59, v37
	v_dual_add_f32 v59, v18, v12 :: v_dual_sub_f32 v12, v12, v18
	v_dual_add_f32 v53, v53, v58 :: v_dual_add_f32 v58, v64, v60
	v_dual_sub_f32 v60, v13, v19 :: v_dual_add_f32 v13, v19, v13
	s_delay_alu instid0(VALU_DEP_1) | instskip(NEXT) | instid1(VALU_DEP_2)
	v_mul_f32_e32 v19, 0xbf7ee86f, v60
	v_mul_f32_e32 v18, 0x3dbcf732, v13
	v_add_f32_e32 v55, v55, v57
	v_fmamk_f32 v57, v65, 0xbf59a7d5, v56
	v_fma_f32 v56, 0xbf59a7d5, v65, -v56
	s_delay_alu instid0(VALU_DEP_1) | instskip(SKIP_1) | instid1(VALU_DEP_1)
	v_add_f32_e32 v22, v56, v22
	v_fmamk_f32 v56, v12, 0x3f7ee86f, v18
	v_dual_fmac_f32 v18, 0xbf7ee86f, v12 :: v_dual_add_f32 v25, v56, v25
	v_mul_f32_e32 v56, 0xbf7ba420, v13
	s_delay_alu instid0(VALU_DEP_2) | instskip(NEXT) | instid1(VALU_DEP_2)
	v_add_f32_e32 v18, v18, v32
	v_fmamk_f32 v32, v12, 0x3e3c28d5, v56
	v_fmac_f32_e32 v56, 0xbe3c28d5, v12
	s_delay_alu instid0(VALU_DEP_2) | instskip(NEXT) | instid1(VALU_DEP_2)
	v_dual_add_f32 v32, v32, v34 :: v_dual_fmac_f32 v35, 0xbf06c442, v24
	v_dual_fmamk_f32 v24, v59, 0x3dbcf732, v19 :: v_dual_add_f32 v29, v56, v29
	s_delay_alu instid0(VALU_DEP_2) | instskip(NEXT) | instid1(VALU_DEP_2)
	v_add_f32_e32 v23, v35, v23
	v_dual_mul_f32 v35, 0xbe3c28d5, v60 :: v_dual_add_f32 v24, v24, v30
	s_delay_alu instid0(VALU_DEP_1) | instskip(SKIP_1) | instid1(VALU_DEP_2)
	v_fmamk_f32 v30, v59, 0xbf7ba420, v35
	v_fma_f32 v35, 0xbf7ba420, v59, -v35
	v_dual_add_f32 v27, v30, v27 :: v_dual_mul_f32 v30, 0x3f763a35, v60
	s_delay_alu instid0(VALU_DEP_2) | instskip(NEXT) | instid1(VALU_DEP_2)
	v_dual_add_f32 v26, v35, v26 :: v_dual_add_f32 v57, v57, v63
	v_fmamk_f32 v61, v59, 0xbe8c1d8e, v30
	v_fma_f32 v30, 0xbe8c1d8e, v59, -v30
	s_delay_alu instid0(VALU_DEP_1) | instskip(SKIP_2) | instid1(VALU_DEP_2)
	v_add_f32_e32 v30, v30, v39
	v_fma_f32 v19, 0x3dbcf732, v59, -v19
	v_mul_f32_e32 v39, 0xbf65296c, v60
	v_dual_add_f32 v19, v19, v38 :: v_dual_mul_f32 v38, 0xbe8c1d8e, v13
	s_delay_alu instid0(VALU_DEP_1) | instskip(SKIP_1) | instid1(VALU_DEP_2)
	v_fmamk_f32 v34, v12, 0xbf763a35, v38
	v_fmac_f32_e32 v38, 0x3f763a35, v12
	v_add_f32_e32 v34, v34, v42
	s_delay_alu instid0(VALU_DEP_2) | instskip(SKIP_2) | instid1(VALU_DEP_2)
	v_add_f32_e32 v38, v38, v40
	v_dual_add_f32 v35, v61, v36 :: v_dual_mul_f32 v42, 0x3f6eb680, v13
	v_mul_f32_e32 v36, 0x3eb8f4ab, v60
	v_fmamk_f32 v40, v12, 0xbeb8f4ab, v42
	s_delay_alu instid0(VALU_DEP_2) | instskip(SKIP_2) | instid1(VALU_DEP_4)
	v_fmamk_f32 v56, v59, 0x3f6eb680, v36
	v_fma_f32 v36, 0x3f6eb680, v59, -v36
	v_fmac_f32_e32 v42, 0x3eb8f4ab, v12
	v_dual_add_f32 v40, v40, v43 :: v_dual_mul_f32 v43, 0x3ee437d1, v13
	s_delay_alu instid0(VALU_DEP_3) | instskip(SKIP_1) | instid1(VALU_DEP_4)
	v_add_f32_e32 v33, v36, v33
	v_dual_add_f32 v41, v56, v41 :: v_dual_fmamk_f32 v56, v59, 0x3ee437d1, v39
	v_add_f32_e32 v36, v42, v46
	s_delay_alu instid0(VALU_DEP_2) | instskip(SKIP_3) | instid1(VALU_DEP_2)
	v_add_f32_e32 v42, v56, v47
	v_fma_f32 v39, 0x3ee437d1, v59, -v39
	v_mul_f32_e32 v56, 0xbf59a7d5, v13
	v_fmamk_f32 v47, v12, 0x3f65296c, v43
	v_dual_add_f32 v39, v39, v44 :: v_dual_fmamk_f32 v44, v12, 0x3f06c442, v56
	s_delay_alu instid0(VALU_DEP_1) | instskip(NEXT) | instid1(VALU_DEP_1)
	v_dual_fmac_f32 v43, 0xbf65296c, v12 :: v_dual_add_f32 v44, v44, v54
	v_dual_mul_f32 v46, 0xbf06c442, v60 :: v_dual_add_f32 v43, v43, v45
	s_delay_alu instid0(VALU_DEP_1) | instskip(SKIP_1) | instid1(VALU_DEP_2)
	v_fmamk_f32 v61, v59, 0xbf59a7d5, v46
	v_fma_f32 v46, 0xbf59a7d5, v59, -v46
	v_dual_fmac_f32 v56, 0xbf06c442, v12 :: v_dual_add_f32 v45, v61, v51
	s_delay_alu instid0(VALU_DEP_2) | instskip(SKIP_2) | instid1(VALU_DEP_4)
	v_dual_add_f32 v46, v46, v49 :: v_dual_add_f32 v47, v47, v48
	v_mul_f32_e32 v48, 0x3f4c4adb, v60
	v_mul_f32_e32 v51, 0xbf1a4643, v13
	v_dual_add_f32 v49, v56, v50 :: v_dual_mul_f32 v50, 0x3f2c7751, v60
	v_mul_f32_e32 v13, 0x3f3d2fb0, v13
	s_delay_alu instid0(VALU_DEP_4) | instskip(SKIP_1) | instid1(VALU_DEP_2)
	v_fmamk_f32 v54, v59, 0xbf1a4643, v48
	v_fma_f32 v48, 0xbf1a4643, v59, -v48
	v_add_f32_e32 v52, v54, v52
	v_fmamk_f32 v54, v59, 0x3f3d2fb0, v50
	v_fmamk_f32 v56, v12, 0xbf4c4adb, v51
	s_delay_alu instid0(VALU_DEP_4) | instskip(SKIP_1) | instid1(VALU_DEP_4)
	v_dual_fmac_f32 v51, 0x3f4c4adb, v12 :: v_dual_add_f32 v48, v48, v53
	v_fma_f32 v50, 0x3f3d2fb0, v59, -v50
	v_add_f32_e32 v53, v54, v57
	s_delay_alu instid0(VALU_DEP_4) | instskip(SKIP_1) | instid1(VALU_DEP_4)
	v_dual_add_f32 v55, v56, v55 :: v_dual_sub_f32 v54, v15, v17
	v_dual_add_f32 v15, v17, v15 :: v_dual_fmamk_f32 v56, v12, 0xbf2c7751, v13
	v_dual_fmac_f32 v13, 0x3f2c7751, v12 :: v_dual_add_f32 v22, v50, v22
	v_dual_add_f32 v17, v16, v14 :: v_dual_sub_f32 v12, v14, v16
	v_add_f32_e32 v51, v51, v58
	s_delay_alu instid0(VALU_DEP_3) | instskip(SKIP_3) | instid1(VALU_DEP_3)
	v_add_f32_e32 v13, v13, v23
	v_dual_mul_f32 v57, 0xbf763a35, v54 :: v_dual_add_f32 v16, v56, v37
	v_mul_f32_e32 v14, 0xbe8c1d8e, v15
	v_mul_f32_e32 v56, 0xbf59a7d5, v15
	v_fmamk_f32 v37, v17, 0xbe8c1d8e, v57
	s_delay_alu instid0(VALU_DEP_1) | instskip(NEXT) | instid1(VALU_DEP_1)
	v_dual_fmamk_f32 v23, v12, 0x3f763a35, v14 :: v_dual_add_f32 v24, v37, v24
	v_dual_mul_f32 v50, 0x3f06c442, v54 :: v_dual_add_f32 v23, v23, v25
	v_fma_f32 v37, 0xbe8c1d8e, v17, -v57
	v_fmac_f32_e32 v14, 0xbf763a35, v12
	v_mul_f32_e32 v57, 0x3f3d2fb0, v15
	s_delay_alu instid0(VALU_DEP_4) | instskip(NEXT) | instid1(VALU_DEP_4)
	v_fmamk_f32 v25, v17, 0xbf59a7d5, v50
	v_add_f32_e32 v19, v37, v19
	v_fma_f32 v37, 0xbf59a7d5, v17, -v50
	s_delay_alu instid0(VALU_DEP_3) | instskip(NEXT) | instid1(VALU_DEP_2)
	v_dual_add_f32 v14, v14, v18 :: v_dual_add_f32 v25, v25, v27
	v_dual_fmamk_f32 v27, v12, 0xbf06c442, v56 :: v_dual_add_f32 v26, v37, v26
	v_mul_f32_e32 v18, 0x3f2c7751, v54
	v_mul_f32_e32 v37, 0xbf65296c, v54
	s_delay_alu instid0(VALU_DEP_2) | instskip(SKIP_1) | instid1(VALU_DEP_2)
	v_dual_add_f32 v27, v27, v32 :: v_dual_fmamk_f32 v50, v17, 0x3f3d2fb0, v18
	v_fma_f32 v18, 0x3f3d2fb0, v17, -v18
	v_dual_add_f32 v32, v50, v35 :: v_dual_fmamk_f32 v35, v12, 0xbf2c7751, v57
	s_delay_alu instid0(VALU_DEP_2) | instskip(SKIP_1) | instid1(VALU_DEP_3)
	v_dual_fmac_f32 v57, 0x3f2c7751, v12 :: v_dual_add_f32 v18, v18, v30
	v_mul_f32_e32 v50, 0x3ee437d1, v15
	v_dual_add_f32 v34, v35, v34 :: v_dual_fmamk_f32 v35, v17, 0x3ee437d1, v37
	v_fmac_f32_e32 v56, 0x3f06c442, v12
	s_delay_alu instid0(VALU_DEP_4) | instskip(NEXT) | instid1(VALU_DEP_4)
	v_add_f32_e32 v30, v57, v38
	v_fmamk_f32 v38, v12, 0x3f65296c, v50
	s_delay_alu instid0(VALU_DEP_4) | instskip(NEXT) | instid1(VALU_DEP_4)
	v_dual_fmac_f32 v50, 0xbf65296c, v12 :: v_dual_add_f32 v35, v35, v41
	v_add_f32_e32 v29, v56, v29
	v_fma_f32 v37, 0x3ee437d1, v17, -v37
	v_mul_f32_e32 v41, 0xbf7ba420, v15
	v_mul_f32_e32 v56, 0xbe3c28d5, v54
	v_dual_add_f32 v36, v50, v36 :: v_dual_mul_f32 v57, 0x3dbcf732, v15
	s_delay_alu instid0(VALU_DEP_4) | instskip(SKIP_1) | instid1(VALU_DEP_4)
	v_dual_add_f32 v33, v37, v33 :: v_dual_add_f32 v38, v38, v40
	v_mul_f32_e32 v37, 0x3f7ee86f, v54
	v_fmamk_f32 v40, v17, 0xbf7ba420, v56
	s_delay_alu instid0(VALU_DEP_1)
	v_add_f32_e32 v40, v40, v42
	v_fmamk_f32 v42, v12, 0x3e3c28d5, v41
	v_fmac_f32_e32 v41, 0xbe3c28d5, v12
	v_fma_f32 v50, 0xbf7ba420, v17, -v56
	v_fmamk_f32 v56, v17, 0x3dbcf732, v37
	v_fma_f32 v37, 0x3dbcf732, v17, -v37
	s_delay_alu instid0(VALU_DEP_4) | instskip(NEXT) | instid1(VALU_DEP_4)
	v_add_f32_e32 v41, v41, v43
	v_add_f32_e32 v39, v50, v39
	s_delay_alu instid0(VALU_DEP_3) | instskip(SKIP_2) | instid1(VALU_DEP_3)
	v_dual_mul_f32 v50, 0x3f6eb680, v15 :: v_dual_add_f32 v37, v37, v46
	v_dual_add_f32 v42, v42, v47 :: v_dual_add_f32 v43, v56, v45
	v_mul_f32_e32 v15, 0xbf1a4643, v15
	v_fmamk_f32 v46, v12, 0x3eb8f4ab, v50
	v_fmamk_f32 v45, v12, 0xbf7ee86f, v57
	s_delay_alu instid0(VALU_DEP_2) | instskip(NEXT) | instid1(VALU_DEP_2)
	v_dual_fmac_f32 v57, 0x3f7ee86f, v12 :: v_dual_add_f32 v46, v46, v55
	v_dual_mul_f32 v47, 0xbeb8f4ab, v54 :: v_dual_add_f32 v44, v45, v44
	s_delay_alu instid0(VALU_DEP_1) | instskip(SKIP_2) | instid1(VALU_DEP_3)
	v_fmamk_f32 v45, v17, 0x3f6eb680, v47
	v_mul_f32_e32 v54, 0xbf4c4adb, v54
	v_fma_f32 v47, 0x3f6eb680, v17, -v47
	v_add_f32_e32 v45, v45, v52
	s_delay_alu instid0(VALU_DEP_3) | instskip(SKIP_1) | instid1(VALU_DEP_4)
	v_fmamk_f32 v52, v17, 0xbf1a4643, v54
	v_fmac_f32_e32 v50, 0xbeb8f4ab, v12
	v_dual_add_f32 v47, v47, v48 :: v_dual_sub_f32 v48, v5, v11
	v_add_f32_e32 v5, v11, v5
	v_fma_f32 v11, 0xbf1a4643, v17, -v54
	s_delay_alu instid0(VALU_DEP_4) | instskip(NEXT) | instid1(VALU_DEP_4)
	v_dual_add_f32 v50, v50, v51 :: v_dual_add_f32 v51, v52, v53
	v_mul_f32_e32 v55, 0xbf4c4adb, v48
	v_dual_fmamk_f32 v52, v12, 0x3f4c4adb, v15 :: v_dual_add_f32 v53, v10, v4
	v_dual_fmac_f32 v15, 0xbf4c4adb, v12 :: v_dual_sub_f32 v4, v4, v10
	v_mul_f32_e32 v12, 0xbf1a4643, v5
	s_delay_alu instid0(VALU_DEP_3) | instskip(NEXT) | instid1(VALU_DEP_4)
	v_add_f32_e32 v16, v52, v16
	v_dual_fmamk_f32 v10, v53, 0xbf1a4643, v55 :: v_dual_add_f32 v11, v11, v22
	s_delay_alu instid0(VALU_DEP_4) | instskip(NEXT) | instid1(VALU_DEP_4)
	v_add_f32_e32 v13, v15, v13
	v_fmamk_f32 v15, v4, 0x3f4c4adb, v12
	v_fma_f32 v22, 0xbf1a4643, v53, -v55
	s_delay_alu instid0(VALU_DEP_4) | instskip(SKIP_1) | instid1(VALU_DEP_4)
	v_add_f32_e32 v10, v10, v24
	v_mul_f32_e32 v24, 0xbe8c1d8e, v5
	v_dual_mul_f32 v52, 0xbf59a7d5, v5 :: v_dual_add_f32 v15, v15, v23
	s_delay_alu instid0(VALU_DEP_4) | instskip(NEXT) | instid1(VALU_DEP_1)
	v_dual_fmac_f32 v12, 0xbf4c4adb, v4 :: v_dual_add_f32 v19, v22, v19
	v_dual_add_f32 v49, v57, v49 :: v_dual_add_f32 v12, v12, v14
	s_delay_alu instid0(VALU_DEP_4) | instskip(NEXT) | instid1(VALU_DEP_1)
	v_fmamk_f32 v14, v4, 0xbf763a35, v24
	v_dual_mul_f32 v17, 0x3f763a35, v48 :: v_dual_add_f32 v14, v14, v27
	s_delay_alu instid0(VALU_DEP_1) | instskip(SKIP_2) | instid1(VALU_DEP_3)
	v_fmamk_f32 v23, v53, 0xbe8c1d8e, v17
	v_fma_f32 v17, 0xbe8c1d8e, v53, -v17
	v_mul_f32_e32 v22, 0xbeb8f4ab, v48
	v_dual_fmac_f32 v24, 0x3f763a35, v4 :: v_dual_add_f32 v23, v23, v25
	s_delay_alu instid0(VALU_DEP_3) | instskip(NEXT) | instid1(VALU_DEP_2)
	v_add_f32_e32 v17, v17, v26
	v_dual_fmamk_f32 v25, v53, 0x3f6eb680, v22 :: v_dual_add_f32 v24, v24, v29
	v_fma_f32 v22, 0x3f6eb680, v53, -v22
	v_mul_f32_e32 v27, 0x3f6eb680, v5
	v_mul_f32_e32 v26, 0xbf06c442, v48
	s_delay_alu instid0(VALU_DEP_3) | instskip(NEXT) | instid1(VALU_DEP_3)
	v_dual_add_f32 v25, v25, v32 :: v_dual_add_f32 v18, v22, v18
	v_fmamk_f32 v29, v4, 0x3eb8f4ab, v27
	v_fmac_f32_e32 v27, 0xbeb8f4ab, v4
	s_delay_alu instid0(VALU_DEP_1) | instskip(SKIP_4) | instid1(VALU_DEP_2)
	v_add_f32_e32 v22, v27, v30
	v_fmamk_f32 v30, v4, 0x3f06c442, v52
	v_fmac_f32_e32 v52, 0xbf06c442, v4
	v_fmamk_f32 v32, v53, 0xbf59a7d5, v26
	v_add_f32_e32 v29, v29, v34
	v_dual_add_f32 v27, v32, v35 :: v_dual_mul_f32 v32, 0x3f7ee86f, v48
	v_mul_f32_e32 v34, 0x3dbcf732, v5
	v_fma_f32 v26, 0xbf59a7d5, v53, -v26
	s_delay_alu instid0(VALU_DEP_1) | instskip(SKIP_1) | instid1(VALU_DEP_2)
	v_dual_fmamk_f32 v35, v53, 0x3dbcf732, v32 :: v_dual_add_f32 v26, v26, v33
	v_add_f32_e32 v33, v52, v36
	v_dual_fmamk_f32 v36, v4, 0xbf7ee86f, v34 :: v_dual_add_f32 v35, v35, v40
	v_add_f32_e32 v30, v30, v38
	v_mul_f32_e32 v38, 0xbf2c7751, v48
	v_fmac_f32_e32 v34, 0x3f7ee86f, v4
	v_mul_f32_e32 v52, 0xbf7ba420, v5
	s_delay_alu instid0(VALU_DEP_3) | instskip(SKIP_1) | instid1(VALU_DEP_1)
	v_fmamk_f32 v40, v53, 0x3f3d2fb0, v38
	v_fma_f32 v38, 0x3f3d2fb0, v53, -v38
	v_add_f32_e32 v37, v38, v37
	v_fma_f32 v32, 0x3dbcf732, v53, -v32
	s_delay_alu instid0(VALU_DEP_1) | instskip(SKIP_4) | instid1(VALU_DEP_3)
	v_dual_add_f32 v32, v32, v39 :: v_dual_mul_f32 v39, 0xbe3c28d5, v48
	v_add_f32_e32 v36, v36, v42
	v_mul_f32_e32 v42, 0x3f3d2fb0, v5
	v_add_f32_e32 v34, v34, v41
	v_mul_f32_e32 v5, 0x3ee437d1, v5
	v_fmamk_f32 v41, v4, 0x3f2c7751, v42
	v_fmac_f32_e32 v42, 0xbf2c7751, v4
	s_delay_alu instid0(VALU_DEP_2)
	v_add_f32_e32 v41, v41, v44
	v_mul_f32_e32 v44, 0x3f65296c, v48
	v_dual_add_f32 v40, v40, v43 :: v_dual_fmamk_f32 v43, v53, 0xbf7ba420, v39
	v_dual_sub_f32 v48, v7, v9 :: v_dual_add_f32 v7, v9, v7
	v_add_f32_e32 v38, v42, v49
	v_fma_f32 v39, 0xbf7ba420, v53, -v39
	s_delay_alu instid0(VALU_DEP_4) | instskip(NEXT) | instid1(VALU_DEP_2)
	v_dual_add_f32 v42, v43, v45 :: v_dual_fmamk_f32 v43, v4, 0x3e3c28d5, v52
	v_dual_fmac_f32 v52, 0xbe3c28d5, v4 :: v_dual_add_f32 v39, v39, v47
	s_delay_alu instid0(VALU_DEP_2) | instskip(SKIP_3) | instid1(VALU_DEP_4)
	v_dual_add_f32 v43, v43, v46 :: v_dual_fmamk_f32 v46, v4, 0xbf65296c, v5
	v_fmac_f32_e32 v5, 0x3f65296c, v4
	v_mul_f32_e32 v9, 0xbf06c442, v48
	v_sub_f32_e32 v4, v6, v8
	v_add_f32_e32 v16, v46, v16
	s_delay_alu instid0(VALU_DEP_4) | instskip(SKIP_3) | instid1(VALU_DEP_4)
	v_dual_add_f32 v46, v8, v6 :: v_dual_add_f32 v5, v5, v13
	v_mul_f32_e32 v13, 0x3f65296c, v48
	v_fmamk_f32 v45, v53, 0x3ee437d1, v44
	v_fma_f32 v44, 0x3ee437d1, v53, -v44
	v_fmamk_f32 v8, v46, 0xbf59a7d5, v9
	v_mul_f32_e32 v6, 0xbf59a7d5, v7
	v_fma_f32 v9, 0xbf59a7d5, v46, -v9
	v_add_f32_e32 v45, v45, v51
	v_add_f32_e32 v11, v44, v11
	;; [unrolled: 1-line block ×3, first 2 shown]
	s_delay_alu instid0(VALU_DEP_4) | instskip(SKIP_1) | instid1(VALU_DEP_2)
	v_dual_fmamk_f32 v10, v46, 0x3ee437d1, v13 :: v_dual_add_f32 v9, v9, v19
	v_fma_f32 v13, 0x3ee437d1, v46, -v13
	v_dual_add_f32 v47, v52, v50 :: v_dual_add_f32 v10, v10, v23
	v_mul_f32_e32 v23, 0x3dbcf732, v7
	s_delay_alu instid0(VALU_DEP_3) | instskip(NEXT) | instid1(VALU_DEP_1)
	v_dual_fmamk_f32 v44, v4, 0x3f06c442, v6 :: v_dual_add_f32 v13, v13, v17
	v_add_f32_e32 v15, v44, v15
	v_mul_f32_e32 v44, 0x3ee437d1, v7
	s_delay_alu instid0(VALU_DEP_1) | instskip(SKIP_1) | instid1(VALU_DEP_1)
	v_fmamk_f32 v19, v4, 0xbf65296c, v44
	v_fmac_f32_e32 v44, 0x3f65296c, v4
	v_dual_add_f32 v14, v19, v14 :: v_dual_add_f32 v17, v44, v24
	v_fmac_f32_e32 v6, 0xbf06c442, v4
	v_fmamk_f32 v19, v4, 0x3f7ee86f, v23
	v_fmac_f32_e32 v23, 0xbf7ee86f, v4
	s_delay_alu instid0(VALU_DEP_3) | instskip(NEXT) | instid1(VALU_DEP_3)
	v_add_f32_e32 v6, v6, v12
	v_dual_mul_f32 v12, 0xbf7ee86f, v48 :: v_dual_add_f32 v19, v19, v29
	v_mul_f32_e32 v29, 0xbf1a4643, v7
	s_delay_alu instid0(VALU_DEP_2) | instskip(SKIP_1) | instid1(VALU_DEP_2)
	v_fmamk_f32 v49, v46, 0x3dbcf732, v12
	v_fma_f32 v12, 0x3dbcf732, v46, -v12
	v_dual_add_f32 v24, v49, v25 :: v_dual_mul_f32 v25, 0x3f4c4adb, v48
	s_delay_alu instid0(VALU_DEP_2) | instskip(SKIP_2) | instid1(VALU_DEP_4)
	v_add_f32_e32 v12, v12, v18
	v_dual_add_f32 v18, v23, v22 :: v_dual_fmamk_f32 v23, v4, 0xbf4c4adb, v29
	v_mul_f32_e32 v22, 0xbeb8f4ab, v48
	v_fmamk_f32 v44, v46, 0xbf1a4643, v25
	v_fma_f32 v25, 0xbf1a4643, v46, -v25
	v_fmac_f32_e32 v29, 0x3f4c4adb, v4
	v_dual_add_f32 v23, v23, v30 :: v_dual_mul_f32 v30, 0x3f6eb680, v7
	s_delay_alu instid0(VALU_DEP_4) | instskip(NEXT) | instid1(VALU_DEP_4)
	v_dual_add_f32 v27, v44, v27 :: v_dual_fmamk_f32 v44, v46, 0x3f6eb680, v22
	v_add_f32_e32 v25, v25, v26
	s_delay_alu instid0(VALU_DEP_4) | instskip(SKIP_1) | instid1(VALU_DEP_4)
	v_dual_add_f32 v26, v29, v33 :: v_dual_mul_f32 v33, 0xbe3c28d5, v48
	v_fma_f32 v22, 0x3f6eb680, v46, -v22
	v_add_f32_e32 v29, v44, v35
	v_fmamk_f32 v35, v4, 0x3eb8f4ab, v30
	s_delay_alu instid0(VALU_DEP_4) | instskip(SKIP_2) | instid1(VALU_DEP_3)
	v_dual_mul_f32 v44, 0xbf7ba420, v7 :: v_dual_fmamk_f32 v49, v46, 0xbf7ba420, v33
	v_fmac_f32_e32 v30, 0xbeb8f4ab, v4
	v_add_f32_e32 v22, v22, v32
	v_dual_add_f32 v35, v35, v36 :: v_dual_fmamk_f32 v32, v4, 0x3e3c28d5, v44
	v_mul_f32_e32 v36, 0x3f2c7751, v48
	v_fma_f32 v33, 0xbf7ba420, v46, -v33
	v_fmac_f32_e32 v44, 0xbe3c28d5, v4
	v_add_f32_e32 v30, v30, v34
	v_add_f32_e32 v34, v49, v40
	s_delay_alu instid0(VALU_DEP_4) | instskip(NEXT) | instid1(VALU_DEP_4)
	v_dual_mul_f32 v40, 0x3f3d2fb0, v7 :: v_dual_add_f32 v33, v33, v37
	v_dual_add_f32 v37, v44, v38 :: v_dual_mul_f32 v38, 0xbf763a35, v48
	v_dual_mul_f32 v7, 0xbe8c1d8e, v7 :: v_dual_add_f32 v32, v32, v41
	v_fmamk_f32 v41, v46, 0x3f3d2fb0, v36
	s_delay_alu instid0(VALU_DEP_4) | instskip(SKIP_1) | instid1(VALU_DEP_3)
	v_fmamk_f32 v44, v4, 0xbf2c7751, v40
	v_fma_f32 v36, 0x3f3d2fb0, v46, -v36
	v_dual_fmac_f32 v40, 0x3f2c7751, v4 :: v_dual_add_f32 v41, v41, v42
	s_delay_alu instid0(VALU_DEP_3) | instskip(NEXT) | instid1(VALU_DEP_3)
	v_dual_fmamk_f32 v42, v46, 0xbe8c1d8e, v38 :: v_dual_add_f32 v43, v44, v43
	v_add_f32_e32 v36, v36, v39
	s_delay_alu instid0(VALU_DEP_3) | instskip(SKIP_1) | instid1(VALU_DEP_4)
	v_add_f32_e32 v39, v40, v47
	v_fmamk_f32 v44, v4, 0x3f763a35, v7
	v_add_f32_e32 v40, v42, v45
	v_fma_f32 v38, 0xbe8c1d8e, v46, -v38
	v_add_f32_e32 v45, v3, v1
	v_fmac_f32_e32 v7, 0xbf763a35, v4
	v_dual_sub_f32 v47, v0, v2 :: v_dual_add_f32 v46, v2, v0
	s_delay_alu instid0(VALU_DEP_3) | instskip(NEXT) | instid1(VALU_DEP_3)
	v_dual_sub_f32 v42, v1, v3 :: v_dual_mul_f32 v3, 0xbf7ba420, v45
	v_add_f32_e32 v48, v7, v5
	v_dual_add_f32 v38, v38, v11 :: v_dual_mul_f32 v11, 0xbf59a7d5, v45
	s_delay_alu instid0(VALU_DEP_3) | instskip(NEXT) | instid1(VALU_DEP_4)
	v_mul_f32_e32 v5, 0x3eb8f4ab, v42
	v_fmamk_f32 v2, v47, 0x3e3c28d5, v3
	v_fmac_f32_e32 v3, 0xbe3c28d5, v47
	s_delay_alu instid0(VALU_DEP_3) | instskip(SKIP_1) | instid1(VALU_DEP_1)
	v_fmamk_f32 v7, v46, 0x3f6eb680, v5
	v_dual_mul_f32 v1, 0xbe3c28d5, v42 :: v_dual_add_f32 v44, v44, v16
	v_dual_add_f32 v3, v3, v6 :: v_dual_fmamk_f32 v0, v46, 0xbf7ba420, v1
	v_fma_f32 v4, 0xbf7ba420, v46, -v1
	v_add_f32_e32 v1, v2, v15
	s_delay_alu instid0(VALU_DEP_3) | instskip(SKIP_1) | instid1(VALU_DEP_4)
	v_dual_mul_f32 v15, 0x3f3d2fb0, v45 :: v_dual_add_f32 v0, v0, v8
	v_mul_f32_e32 v8, 0x3f6eb680, v45
	v_dual_add_f32 v2, v4, v9 :: v_dual_mul_f32 v9, 0xbf06c442, v42
	v_add_f32_e32 v4, v7, v10
	v_fma_f32 v7, 0x3f6eb680, v46, -v5
	s_delay_alu instid0(VALU_DEP_4) | instskip(SKIP_2) | instid1(VALU_DEP_3)
	v_fmamk_f32 v6, v47, 0xbeb8f4ab, v8
	v_fmac_f32_e32 v8, 0x3eb8f4ab, v47
	v_fmamk_f32 v10, v46, 0xbf59a7d5, v9
	v_dual_add_f32 v5, v6, v14 :: v_dual_add_f32 v6, v7, v13
	s_delay_alu instid0(VALU_DEP_2)
	v_dual_add_f32 v7, v8, v17 :: v_dual_add_f32 v8, v10, v24
	v_fmamk_f32 v10, v47, 0x3f06c442, v11
	v_mul_f32_e32 v13, 0x3f2c7751, v42
	v_fma_f32 v14, 0xbf59a7d5, v46, -v9
	v_fmac_f32_e32 v11, 0xbf06c442, v47
	v_mul_f32_e32 v17, 0xbf4c4adb, v42
	v_add_f32_e32 v9, v10, v19
	v_fmamk_f32 v16, v46, 0x3f3d2fb0, v13
	v_add_f32_e32 v10, v14, v12
	v_fmamk_f32 v14, v47, 0xbf2c7751, v15
	v_add_f32_e32 v11, v11, v18
	v_fmac_f32_e32 v15, 0x3f2c7751, v47
	v_add_f32_e32 v12, v16, v27
	v_fma_f32 v16, 0x3f3d2fb0, v46, -v13
	v_add_f32_e32 v13, v14, v23
	v_dual_fmamk_f32 v18, v46, 0xbf1a4643, v17 :: v_dual_mul_f32 v19, 0xbf1a4643, v45
	s_delay_alu instid0(VALU_DEP_3) | instskip(NEXT) | instid1(VALU_DEP_2)
	v_dual_mul_f32 v23, 0x3f65296c, v42 :: v_dual_add_f32 v14, v16, v25
	v_dual_add_f32 v15, v15, v26 :: v_dual_add_f32 v16, v18, v29
	v_mul_f32_e32 v27, 0xbf763a35, v42
	s_delay_alu instid0(VALU_DEP_4) | instskip(SKIP_3) | instid1(VALU_DEP_3)
	v_fmamk_f32 v18, v47, 0x3f4c4adb, v19
	v_fma_f32 v24, 0xbf1a4643, v46, -v17
	v_fmac_f32_e32 v19, 0xbf4c4adb, v47
	v_dual_fmamk_f32 v25, v46, 0x3ee437d1, v23 :: v_dual_mul_f32 v26, 0x3ee437d1, v45
	v_dual_add_f32 v17, v18, v35 :: v_dual_add_f32 v18, v24, v22
	v_fmamk_f32 v29, v46, 0xbe8c1d8e, v27
	s_delay_alu instid0(VALU_DEP_4) | instskip(NEXT) | instid1(VALU_DEP_4)
	v_add_f32_e32 v19, v19, v30
	v_dual_add_f32 v22, v25, v34 :: v_dual_mul_f32 v35, 0x3dbcf732, v45
	v_fmamk_f32 v24, v47, 0xbf65296c, v26
	v_fma_f32 v25, 0x3ee437d1, v46, -v23
	v_mul_f32_e32 v30, 0xbe8c1d8e, v45
	v_fmac_f32_e32 v26, 0x3f65296c, v47
	s_delay_alu instid0(VALU_DEP_4) | instskip(NEXT) | instid1(VALU_DEP_4)
	v_dual_mul_f32 v34, 0x3f7ee86f, v42 :: v_dual_add_f32 v23, v24, v32
	v_add_f32_e32 v24, v25, v33
	s_delay_alu instid0(VALU_DEP_4)
	v_fmamk_f32 v32, v47, 0x3f763a35, v30
	v_fma_f32 v33, 0xbe8c1d8e, v46, -v27
	v_add_f32_e32 v25, v26, v37
	v_add_f32_e32 v26, v29, v41
	v_fmac_f32_e32 v30, 0xbf763a35, v47
	v_add_f32_e32 v27, v32, v43
	v_dual_add_f32 v29, v33, v36 :: v_dual_fmamk_f32 v32, v46, 0x3dbcf732, v34
	v_fmamk_f32 v33, v47, 0xbf7ee86f, v35
	v_fma_f32 v34, 0x3dbcf732, v46, -v34
	v_fmac_f32_e32 v35, 0x3f7ee86f, v47
	v_add_f32_e32 v30, v30, v39
	v_add_f32_e32 v32, v32, v40
	s_delay_alu instid0(VALU_DEP_4) | instskip(NEXT) | instid1(VALU_DEP_4)
	v_dual_add_f32 v33, v33, v44 :: v_dual_add_f32 v34, v34, v38
	v_add_f32_e32 v35, v35, v48
	ds_store_2addr_b64 v31, v[20:21], v[0:1] offset1:1
	ds_store_2addr_b64 v31, v[4:5], v[8:9] offset0:2 offset1:3
	ds_store_2addr_b64 v31, v[12:13], v[16:17] offset0:4 offset1:5
	;; [unrolled: 1-line block ×7, first 2 shown]
	ds_store_b64 v31, v[2:3] offset:128
	global_wb scope:SCOPE_SE
	s_wait_dscnt 0x0
	s_barrier_signal -1
	s_barrier_wait -1
	global_inv scope:SCOPE_SE
	ds_load_2addr_b64 v[0:3], v31 offset1:1
	ds_load_2addr_b64 v[4:7], v31 offset0:2 offset1:3
	v_mad_co_u64_u32 v[22:23], null, s22, v28, 0
	s_wait_dscnt 0x1
	v_dual_mul_f32 v8, s53, v1 :: v_dual_mul_f32 v9, s55, v3
	v_mul_f32_e32 v10, s55, v2
	s_wait_dscnt 0x0
	v_dual_mul_f32 v24, s59, v7 :: v_dual_mul_f32 v25, s59, v6
	s_delay_alu instid0(VALU_DEP_3) | instskip(SKIP_2) | instid1(VALU_DEP_4)
	v_fmac_f32_e32 v8, s52, v0
	v_dual_mul_f32 v0, s53, v0 :: v_dual_fmac_f32 v9, s54, v2
	v_mul_f32_e32 v2, s57, v5
	v_fmac_f32_e32 v24, s58, v6
	s_delay_alu instid0(VALU_DEP_4) | instskip(NEXT) | instid1(VALU_DEP_4)
	v_cvt_f64_f32_e32 v[12:13], v8
	v_fma_f32 v0, s52, v1, -v0
	v_fma_f32 v1, s54, v3, -v10
	v_mul_f32_e32 v3, s57, v4
	v_fmac_f32_e32 v2, s56, v4
	v_cvt_f64_f32_e32 v[16:17], v9
	v_cvt_f64_f32_e32 v[14:15], v0
	;; [unrolled: 1-line block ×3, first 2 shown]
	v_fma_f32 v0, s56, v5, -v3
	v_cvt_f64_f32_e32 v[4:5], v2
	ds_load_2addr_b64 v[8:11], v31 offset0:6 offset1:7
	v_fma_f32 v25, s58, v7, -v25
	v_cvt_f64_f32_e32 v[20:21], v0
	ds_load_2addr_b64 v[0:3], v31 offset0:4 offset1:5
	s_wait_dscnt 0x1
	v_mul_f32_e32 v34, s65, v9
	s_wait_dscnt 0x0
	v_mul_f32_e32 v26, s61, v1
	v_dual_mul_f32 v32, s63, v3 :: v_dual_mul_f32 v29, s63, v2
	s_delay_alu instid0(VALU_DEP_3)
	v_fmac_f32_e32 v34, s64, v8
	s_wait_alu 0xfffe
	v_mul_f64_e32 v[12:13], s[2:3], v[12:13]
	v_fmac_f32_e32 v26, s60, v0
	v_mul_f32_e32 v0, s61, v0
	v_fmac_f32_e32 v32, s62, v2
	v_fma_f32 v2, s62, v3, -v29
	v_mul_f64_e32 v[16:17], s[2:3], v[16:17]
	v_mul_f64_e32 v[14:15], s[2:3], v[14:15]
	v_fma_f32 v0, s60, v1, -v0
	v_mul_f32_e32 v1, s65, v8
	v_mul_f64_e32 v[18:19], s[2:3], v[18:19]
	v_mul_f64_e32 v[4:5], s[2:3], v[4:5]
	v_cvt_f64_f32_e32 v[26:27], v26
	v_cvt_f64_f32_e32 v[29:30], v0
	v_mul_f64_e32 v[6:7], s[2:3], v[20:21]
	v_fma_f32 v0, s64, v9, -v1
	v_mul_f32_e32 v1, s67, v11
	v_cvt_f64_f32_e32 v[20:21], v24
	v_cvt_f64_f32_e32 v[24:25], v25
	;; [unrolled: 1-line block ×3, first 2 shown]
	v_mul_f32_e32 v2, s67, v10
	v_fmac_f32_e32 v1, s66, v10
	v_cvt_f64_f32_e32 v[32:33], v32
	v_cvt_f64_f32_e32 v[34:35], v34
	;; [unrolled: 1-line block ×3, first 2 shown]
	v_fma_f32 v2, s66, v11, -v2
	v_cvt_f64_f32_e32 v[10:11], v1
	v_mov_b32_e32 v0, v23
	s_delay_alu instid0(VALU_DEP_3) | instskip(NEXT) | instid1(VALU_DEP_2)
	v_cvt_f64_f32_e32 v[38:39], v2
	v_mad_co_u64_u32 v[40:41], null, s23, v28, v[0:1]
	ds_load_2addr_b64 v[0:3], v31 offset0:8 offset1:9
	v_cvt_f32_f64_e32 v12, v[12:13]
	v_mov_b32_e32 v23, v40
	v_cvt_f32_f64_e32 v16, v[16:17]
	v_cvt_f32_f64_e32 v13, v[14:15]
	s_delay_alu instid0(VALU_DEP_3)
	v_lshlrev_b64_e32 v[14:15], 3, v[22:23]
	v_cvt_f32_f64_e32 v17, v[18:19]
	v_cvt_f32_f64_e32 v18, v[4:5]
	;; [unrolled: 1-line block ×3, first 2 shown]
	ds_load_2addr_b64 v[4:7], v31 offset0:10 offset1:11
	s_wait_dscnt 0x1
	v_mul_f32_e32 v40, s5, v0
	v_mul_f64_e32 v[20:21], s[2:3], v[20:21]
	v_mul_f64_e32 v[22:23], s[2:3], v[24:25]
	;; [unrolled: 1-line block ×4, first 2 shown]
	v_mul_f32_e32 v30, s5, v1
	v_fma_f32 v40, s4, v1, -v40
	v_mul_f64_e32 v[28:29], s[2:3], v[32:33]
	v_mul_f64_e32 v[8:9], s[2:3], v[8:9]
	;; [unrolled: 1-line block ×3, first 2 shown]
	v_fmac_f32_e32 v30, s4, v0
	v_mul_f64_e32 v[34:35], s[2:3], v[36:37]
	v_add_co_u32 v36, vcc_lo, s0, v14
	v_mul_f64_e32 v[10:11], s[2:3], v[10:11]
	s_wait_alu 0xfffd
	v_add_co_ci_u32_e32 v37, vcc_lo, s1, v15, vcc_lo
	v_mul_f64_e32 v[14:15], s[2:3], v[38:39]
	v_cvt_f64_f32_e32 v[38:39], v30
	v_cvt_f64_f32_e32 v[40:41], v40
	s_lshl_b64 s[0:1], s[20:21], 3
	v_mad_co_u64_u32 v[0:1], null, s20, 24, v[36:37]
	s_wait_alu 0xfffe
	v_add_co_u32 v42, vcc_lo, v36, s0
	s_wait_alu 0xfffd
	v_add_co_ci_u32_e32 v43, vcc_lo, s1, v37, vcc_lo
	s_lshl_b64 s[0:1], s[20:21], 4
	s_wait_dscnt 0x0
	v_mul_f32_e32 v30, s9, v5
	s_wait_alu 0xfffe
	v_add_co_u32 v44, vcc_lo, v36, s0
	s_wait_alu 0xfffd
	v_add_co_ci_u32_e32 v45, vcc_lo, s1, v37, vcc_lo
	s_clause 0x2
	global_store_b64 v[36:37], v[12:13], off
	global_store_b64 v[42:43], v[16:17], off
	;; [unrolled: 1-line block ×3, first 2 shown]
	v_mul_f32_e32 v12, s7, v3
	v_mad_co_u64_u32 v[46:47], null, s21, 24, v[1:2]
	v_mul_f32_e32 v42, s9, v4
	v_cvt_f32_f64_e32 v16, v[20:21]
	s_delay_alu instid0(VALU_DEP_4)
	v_fmac_f32_e32 v12, s6, v2
	v_mul_f32_e32 v2, s7, v2
	v_cvt_f32_f64_e32 v20, v[24:25]
	v_fmac_f32_e32 v30, s8, v4
	v_cvt_f32_f64_e32 v17, v[22:23]
	v_cvt_f32_f64_e32 v22, v[28:29]
	v_fma_f32 v2, s6, v3, -v2
	v_cvt_f32_f64_e32 v23, v[8:9]
	v_fma_f32 v42, s8, v5, -v42
	v_cvt_f32_f64_e32 v25, v[34:35]
	v_cvt_f64_f32_e32 v[4:5], v30
	v_cvt_f64_f32_e32 v[2:3], v2
	v_cvt_f32_f64_e32 v28, v[10:11]
	ds_load_2addr_b64 v[8:11], v31 offset0:12 offset1:13
	v_mul_f32_e32 v43, s11, v7
	v_cvt_f32_f64_e32 v29, v[14:15]
	v_mul_f64_e32 v[34:35], s[2:3], v[38:39]
	v_mul_f64_e32 v[38:39], s[2:3], v[40:41]
	v_cvt_f64_f32_e32 v[40:41], v12
	ds_load_2addr_b64 v[12:15], v31 offset0:14 offset1:15
	ds_load_b64 v[30:31], v31 offset:128
	v_dual_mul_f32 v44, s11, v6 :: v_dual_mov_b32 v1, v46
	v_fmac_f32_e32 v43, s10, v6
	v_mad_co_u64_u32 v[18:19], null, s20, 40, v[36:37]
	s_delay_alu instid0(VALU_DEP_3)
	v_fma_f32 v44, s10, v7, -v44
	v_cvt_f64_f32_e32 v[6:7], v42
	v_cvt_f32_f64_e32 v24, v[32:33]
	v_mad_co_u64_u32 v[32:33], null, s20, 56, v[36:37]
	v_cvt_f32_f64_e32 v21, v[26:27]
	v_cvt_f64_f32_e32 v[42:43], v43
	s_wait_dscnt 0x2
	v_dual_mul_f32 v46, s13, v9 :: v_dual_mul_f32 v47, s13, v8
	v_dual_mul_f32 v48, s15, v11 :: v_dual_mul_f32 v49, s15, v10
	v_cvt_f64_f32_e32 v[44:45], v44
	s_delay_alu instid0(VALU_DEP_3)
	v_fmac_f32_e32 v46, s12, v8
	s_wait_dscnt 0x1
	v_mul_f32_e32 v50, s17, v13
	v_fma_f32 v47, s12, v9, -v47
	v_fmac_f32_e32 v48, s14, v10
	v_fma_f32 v49, s14, v11, -v49
	v_cvt_f64_f32_e32 v[8:9], v46
	v_fmac_f32_e32 v50, s16, v12
	v_cvt_f64_f32_e32 v[10:11], v47
	v_mul_f32_e32 v12, s17, v12
	v_dual_mul_f32 v52, s19, v15 :: v_dual_mul_f32 v53, s19, v14
	s_delay_alu instid0(VALU_DEP_4)
	v_cvt_f64_f32_e32 v[50:51], v50
	v_mad_co_u64_u32 v[58:59], null, s21, 40, v[19:20]
	s_wait_dscnt 0x0
	v_dual_mov_b32 v19, v33 :: v_dual_mul_f32 v54, s37, v31
	v_mul_f32_e32 v55, s37, v30
	v_fma_f32 v12, s16, v13, -v12
	v_fmac_f32_e32 v52, s18, v14
	v_fma_f32 v53, s18, v15, -v53
	global_store_b64 v[0:1], v[16:17], off
	v_mad_co_u64_u32 v[0:1], null, s21, 56, v[19:20]
	v_fmac_f32_e32 v54, s36, v30
	v_fma_f32 v55, s36, v31, -v55
	v_mul_f64_e32 v[1:2], s[2:3], v[2:3]
	v_mul_f64_e32 v[3:4], s[2:3], v[4:5]
	v_cvt_f64_f32_e32 v[46:47], v48
	v_cvt_f64_f32_e32 v[48:49], v49
	;; [unrolled: 1-line block ×7, first 2 shown]
	v_mad_co_u64_u32 v[26:27], null, s20, 48, v[36:37]
	s_lshl_b64 s[0:1], s[20:21], 5
	v_mul_f64_e32 v[5:6], s[2:3], v[6:7]
	s_wait_alu 0xfffe
	v_add_co_u32 v56, vcc_lo, v36, s0
	s_wait_alu 0xfffd
	v_add_co_ci_u32_e32 v57, vcc_lo, s1, v37, vcc_lo
	s_delay_alu instid0(VALU_DEP_4)
	v_mad_co_u64_u32 v[59:60], null, s21, 48, v[27:28]
	v_mov_b32_e32 v19, v58
	v_mul_f64_e32 v[7:8], s[2:3], v[8:9]
	global_store_b64 v[56:57], v[20:21], off
	v_mul_f64_e32 v[9:10], s[2:3], v[10:11]
	v_mul_f64_e32 v[16:17], s[2:3], v[40:41]
	v_mov_b32_e32 v33, v0
	v_mov_b32_e32 v27, v59
	s_clause 0x1
	global_store_b64 v[18:19], v[22:23], off
	global_store_b64 v[26:27], v[24:25], off
	v_mul_f64_e32 v[24:25], s[2:3], v[50:51]
	v_mul_f64_e32 v[40:41], s[2:3], v[42:43]
	;; [unrolled: 1-line block ×3, first 2 shown]
	global_store_b64 v[32:33], v[28:29], off
	v_mad_co_u64_u32 v[44:45], null, 0x58, s20, v[36:37]
	v_mad_co_u64_u32 v[20:21], null, 0x48, s20, v[36:37]
	v_cvt_f32_f64_e32 v33, v[38:39]
	v_cvt_f32_f64_e32 v3, v[3:4]
	v_mul_f64_e32 v[18:19], s[2:3], v[46:47]
	v_mul_f64_e32 v[22:23], s[2:3], v[48:49]
	;; [unrolled: 1-line block ×7, first 2 shown]
	v_mad_co_u64_u32 v[38:39], null, 0x50, s20, v[36:37]
	v_mov_b32_e32 v0, v21
	v_cvt_f32_f64_e32 v4, v[5:6]
	v_mov_b32_e32 v5, v45
	v_cvt_f32_f64_e32 v32, v[34:35]
	s_lshl_b64 s[0:1], s[20:21], 6
	v_mad_co_u64_u32 v[34:35], null, 0x48, s21, v[0:1]
	s_delay_alu instid0(VALU_DEP_3)
	v_mad_co_u64_u32 v[5:6], null, 0x58, s21, v[5:6]
	v_cvt_f32_f64_e32 v6, v[7:8]
	v_cvt_f32_f64_e32 v1, v[1:2]
	;; [unrolled: 1-line block ×3, first 2 shown]
	v_mov_b32_e32 v2, v39
	v_cvt_f32_f64_e32 v0, v[16:17]
	v_mad_co_u64_u32 v[8:9], null, 0x60, s20, v[36:37]
	v_mov_b32_e32 v45, v5
	s_wait_alu 0xfffe
	v_add_co_u32 v46, vcc_lo, v36, s0
	v_cvt_f32_f64_e32 v10, v[24:25]
	v_mad_co_u64_u32 v[24:25], null, 0x68, s20, v[36:37]
	v_cvt_f32_f64_e32 v17, v[42:43]
	v_mov_b32_e32 v21, v34
	s_wait_alu 0xfffd
	v_add_co_ci_u32_e32 v47, vcc_lo, s1, v37, vcc_lo
	s_lshl_b64 s[0:1], s[20:21], 7
	v_mad_co_u64_u32 v[15:16], null, 0x50, s21, v[2:3]
	v_cvt_f32_f64_e32 v16, v[40:41]
	v_cvt_f32_f64_e32 v18, v[18:19]
	;; [unrolled: 1-line block ×8, first 2 shown]
	v_mad_co_u64_u32 v[26:27], null, 0x70, s20, v[36:37]
	v_mad_co_u64_u32 v[28:29], null, 0x78, s20, v[36:37]
	v_dual_mov_b32 v2, v9 :: v_dual_mov_b32 v5, v25
	v_mov_b32_e32 v39, v15
	s_clause 0x3
	global_store_b64 v[46:47], v[32:33], off
	global_store_b64 v[20:21], v[0:1], off
	;; [unrolled: 1-line block ×4, first 2 shown]
	v_mad_co_u64_u32 v[14:15], null, 0x60, s21, v[2:3]
	v_dual_mov_b32 v2, v27 :: v_dual_mov_b32 v9, v29
	v_mad_co_u64_u32 v[29:30], null, 0x68, s21, v[5:6]
	s_wait_alu 0xfffe
	v_add_co_u32 v0, vcc_lo, v36, s0
	s_delay_alu instid0(VALU_DEP_3)
	v_mad_co_u64_u32 v[30:31], null, 0x70, s21, v[2:3]
	v_mad_co_u64_u32 v[34:35], null, 0x78, s21, v[9:10]
	v_mov_b32_e32 v9, v14
	v_mov_b32_e32 v25, v29
	s_wait_alu 0xfffd
	v_add_co_ci_u32_e32 v1, vcc_lo, s1, v37, vcc_lo
	v_mov_b32_e32 v27, v30
	v_mov_b32_e32 v29, v34
	s_clause 0x4
	global_store_b64 v[8:9], v[6:7], off
	global_store_b64 v[24:25], v[18:19], off
	global_store_b64 v[26:27], v[10:11], off
	global_store_b64 v[28:29], v[12:13], off
	global_store_b64 v[0:1], v[22:23], off
.LBB0_2:
	s_nop 0
	s_sendmsg sendmsg(MSG_DEALLOC_VGPRS)
	s_endpgm
	.section	.rodata,"a",@progbits
	.p2align	6, 0x0
	.amdhsa_kernel bluestein_single_fwd_len17_dim1_sp_op_CI_CI
		.amdhsa_group_segment_fixed_size 16320
		.amdhsa_private_segment_fixed_size 0
		.amdhsa_kernarg_size 104
		.amdhsa_user_sgpr_count 2
		.amdhsa_user_sgpr_dispatch_ptr 0
		.amdhsa_user_sgpr_queue_ptr 0
		.amdhsa_user_sgpr_kernarg_segment_ptr 1
		.amdhsa_user_sgpr_dispatch_id 0
		.amdhsa_user_sgpr_private_segment_size 0
		.amdhsa_wavefront_size32 1
		.amdhsa_uses_dynamic_stack 0
		.amdhsa_enable_private_segment 0
		.amdhsa_system_sgpr_workgroup_id_x 1
		.amdhsa_system_sgpr_workgroup_id_y 0
		.amdhsa_system_sgpr_workgroup_id_z 0
		.amdhsa_system_sgpr_workgroup_info 0
		.amdhsa_system_vgpr_workitem_id 0
		.amdhsa_next_free_vgpr 143
		.amdhsa_next_free_sgpr 84
		.amdhsa_reserve_vcc 1
		.amdhsa_float_round_mode_32 0
		.amdhsa_float_round_mode_16_64 0
		.amdhsa_float_denorm_mode_32 3
		.amdhsa_float_denorm_mode_16_64 3
		.amdhsa_fp16_overflow 0
		.amdhsa_workgroup_processor_mode 1
		.amdhsa_memory_ordered 1
		.amdhsa_forward_progress 0
		.amdhsa_round_robin_scheduling 0
		.amdhsa_exception_fp_ieee_invalid_op 0
		.amdhsa_exception_fp_denorm_src 0
		.amdhsa_exception_fp_ieee_div_zero 0
		.amdhsa_exception_fp_ieee_overflow 0
		.amdhsa_exception_fp_ieee_underflow 0
		.amdhsa_exception_fp_ieee_inexact 0
		.amdhsa_exception_int_div_zero 0
	.end_amdhsa_kernel
	.text
.Lfunc_end0:
	.size	bluestein_single_fwd_len17_dim1_sp_op_CI_CI, .Lfunc_end0-bluestein_single_fwd_len17_dim1_sp_op_CI_CI
                                        ; -- End function
	.section	.AMDGPU.csdata,"",@progbits
; Kernel info:
; codeLenInByte = 14000
; NumSgprs: 86
; NumVgprs: 143
; ScratchSize: 0
; MemoryBound: 0
; FloatMode: 240
; IeeeMode: 1
; LDSByteSize: 16320 bytes/workgroup (compile time only)
; SGPRBlocks: 10
; VGPRBlocks: 17
; NumSGPRsForWavesPerEU: 86
; NumVGPRsForWavesPerEU: 143
; Occupancy: 8
; WaveLimiterHint : 1
; COMPUTE_PGM_RSRC2:SCRATCH_EN: 0
; COMPUTE_PGM_RSRC2:USER_SGPR: 2
; COMPUTE_PGM_RSRC2:TRAP_HANDLER: 0
; COMPUTE_PGM_RSRC2:TGID_X_EN: 1
; COMPUTE_PGM_RSRC2:TGID_Y_EN: 0
; COMPUTE_PGM_RSRC2:TGID_Z_EN: 0
; COMPUTE_PGM_RSRC2:TIDIG_COMP_CNT: 0
	.text
	.p2alignl 7, 3214868480
	.fill 96, 4, 3214868480
	.type	__hip_cuid_ca19e7caacedb2ea,@object ; @__hip_cuid_ca19e7caacedb2ea
	.section	.bss,"aw",@nobits
	.globl	__hip_cuid_ca19e7caacedb2ea
__hip_cuid_ca19e7caacedb2ea:
	.byte	0                               ; 0x0
	.size	__hip_cuid_ca19e7caacedb2ea, 1

	.ident	"AMD clang version 19.0.0git (https://github.com/RadeonOpenCompute/llvm-project roc-6.4.0 25133 c7fe45cf4b819c5991fe208aaa96edf142730f1d)"
	.section	".note.GNU-stack","",@progbits
	.addrsig
	.addrsig_sym __hip_cuid_ca19e7caacedb2ea
	.amdgpu_metadata
---
amdhsa.kernels:
  - .args:
      - .actual_access:  read_only
        .address_space:  global
        .offset:         0
        .size:           8
        .value_kind:     global_buffer
      - .actual_access:  read_only
        .address_space:  global
        .offset:         8
        .size:           8
        .value_kind:     global_buffer
      - .actual_access:  read_only
        .address_space:  global
        .offset:         16
        .size:           8
        .value_kind:     global_buffer
      - .actual_access:  read_only
        .address_space:  global
        .offset:         24
        .size:           8
        .value_kind:     global_buffer
      - .actual_access:  read_only
        .address_space:  global
        .offset:         32
        .size:           8
        .value_kind:     global_buffer
      - .offset:         40
        .size:           8
        .value_kind:     by_value
      - .address_space:  global
        .offset:         48
        .size:           8
        .value_kind:     global_buffer
      - .address_space:  global
        .offset:         56
        .size:           8
        .value_kind:     global_buffer
      - .address_space:  global
        .offset:         64
        .size:           8
        .value_kind:     global_buffer
      - .address_space:  global
        .offset:         72
        .size:           8
        .value_kind:     global_buffer
      - .offset:         80
        .size:           4
        .value_kind:     by_value
      - .address_space:  global
        .offset:         88
        .size:           8
        .value_kind:     global_buffer
      - .address_space:  global
        .offset:         96
        .size:           8
        .value_kind:     global_buffer
    .group_segment_fixed_size: 16320
    .kernarg_segment_align: 8
    .kernarg_segment_size: 104
    .language:       OpenCL C
    .language_version:
      - 2
      - 0
    .max_flat_workgroup_size: 120
    .name:           bluestein_single_fwd_len17_dim1_sp_op_CI_CI
    .private_segment_fixed_size: 0
    .sgpr_count:     86
    .sgpr_spill_count: 0
    .symbol:         bluestein_single_fwd_len17_dim1_sp_op_CI_CI.kd
    .uniform_work_group_size: 1
    .uses_dynamic_stack: false
    .vgpr_count:     143
    .vgpr_spill_count: 0
    .wavefront_size: 32
    .workgroup_processor_mode: 1
amdhsa.target:   amdgcn-amd-amdhsa--gfx1201
amdhsa.version:
  - 1
  - 2
...

	.end_amdgpu_metadata
